;; amdgpu-corpus repo=ROCm/rocSOLVER kind=compiled arch=gfx906 opt=O3
	.amdgcn_target "amdgcn-amd-amdhsa--gfx906"
	.amdhsa_code_object_version 6
	.section	.text._ZN9rocsolver6v33100L10reset_infoIiiiEEvPT_T0_T1_S4_,"axG",@progbits,_ZN9rocsolver6v33100L10reset_infoIiiiEEvPT_T0_T1_S4_,comdat
	.globl	_ZN9rocsolver6v33100L10reset_infoIiiiEEvPT_T0_T1_S4_ ; -- Begin function _ZN9rocsolver6v33100L10reset_infoIiiiEEvPT_T0_T1_S4_
	.p2align	8
	.type	_ZN9rocsolver6v33100L10reset_infoIiiiEEvPT_T0_T1_S4_,@function
_ZN9rocsolver6v33100L10reset_infoIiiiEEvPT_T0_T1_S4_: ; @_ZN9rocsolver6v33100L10reset_infoIiiiEEvPT_T0_T1_S4_
; %bb.0:
	s_load_dword s7, s[4:5], 0x24
	s_load_dwordx4 s[0:3], s[4:5], 0x8
	s_waitcnt lgkmcnt(0)
	s_and_b32 s3, s7, 0xffff
	s_mul_i32 s6, s6, s3
	v_add_u32_e32 v0, s6, v0
	v_cmp_gt_i32_e32 vcc, s0, v0
	s_and_saveexec_b64 s[6:7], vcc
	s_cbranch_execz .LBB0_2
; %bb.1:
	s_load_dwordx2 s[4:5], s[4:5], 0x0
	v_ashrrev_i32_e32 v1, 31, v0
	v_mul_lo_u32 v2, v0, s2
	v_lshlrev_b64 v[0:1], 2, v[0:1]
	s_waitcnt lgkmcnt(0)
	v_mov_b32_e32 v3, s5
	v_add_co_u32_e32 v0, vcc, s4, v0
	v_addc_co_u32_e32 v1, vcc, v3, v1, vcc
	v_add_u32_e32 v2, s1, v2
	global_store_dword v[0:1], v2, off
.LBB0_2:
	s_endpgm
	.section	.rodata,"a",@progbits
	.p2align	6, 0x0
	.amdhsa_kernel _ZN9rocsolver6v33100L10reset_infoIiiiEEvPT_T0_T1_S4_
		.amdhsa_group_segment_fixed_size 0
		.amdhsa_private_segment_fixed_size 0
		.amdhsa_kernarg_size 280
		.amdhsa_user_sgpr_count 6
		.amdhsa_user_sgpr_private_segment_buffer 1
		.amdhsa_user_sgpr_dispatch_ptr 0
		.amdhsa_user_sgpr_queue_ptr 0
		.amdhsa_user_sgpr_kernarg_segment_ptr 1
		.amdhsa_user_sgpr_dispatch_id 0
		.amdhsa_user_sgpr_flat_scratch_init 0
		.amdhsa_user_sgpr_private_segment_size 0
		.amdhsa_uses_dynamic_stack 0
		.amdhsa_system_sgpr_private_segment_wavefront_offset 0
		.amdhsa_system_sgpr_workgroup_id_x 1
		.amdhsa_system_sgpr_workgroup_id_y 0
		.amdhsa_system_sgpr_workgroup_id_z 0
		.amdhsa_system_sgpr_workgroup_info 0
		.amdhsa_system_vgpr_workitem_id 0
		.amdhsa_next_free_vgpr 4
		.amdhsa_next_free_sgpr 8
		.amdhsa_reserve_vcc 1
		.amdhsa_reserve_flat_scratch 0
		.amdhsa_float_round_mode_32 0
		.amdhsa_float_round_mode_16_64 0
		.amdhsa_float_denorm_mode_32 3
		.amdhsa_float_denorm_mode_16_64 3
		.amdhsa_dx10_clamp 1
		.amdhsa_ieee_mode 1
		.amdhsa_fp16_overflow 0
		.amdhsa_exception_fp_ieee_invalid_op 0
		.amdhsa_exception_fp_denorm_src 0
		.amdhsa_exception_fp_ieee_div_zero 0
		.amdhsa_exception_fp_ieee_overflow 0
		.amdhsa_exception_fp_ieee_underflow 0
		.amdhsa_exception_fp_ieee_inexact 0
		.amdhsa_exception_int_div_zero 0
	.end_amdhsa_kernel
	.section	.text._ZN9rocsolver6v33100L10reset_infoIiiiEEvPT_T0_T1_S4_,"axG",@progbits,_ZN9rocsolver6v33100L10reset_infoIiiiEEvPT_T0_T1_S4_,comdat
.Lfunc_end0:
	.size	_ZN9rocsolver6v33100L10reset_infoIiiiEEvPT_T0_T1_S4_, .Lfunc_end0-_ZN9rocsolver6v33100L10reset_infoIiiiEEvPT_T0_T1_S4_
                                        ; -- End function
	.set _ZN9rocsolver6v33100L10reset_infoIiiiEEvPT_T0_T1_S4_.num_vgpr, 4
	.set _ZN9rocsolver6v33100L10reset_infoIiiiEEvPT_T0_T1_S4_.num_agpr, 0
	.set _ZN9rocsolver6v33100L10reset_infoIiiiEEvPT_T0_T1_S4_.numbered_sgpr, 8
	.set _ZN9rocsolver6v33100L10reset_infoIiiiEEvPT_T0_T1_S4_.num_named_barrier, 0
	.set _ZN9rocsolver6v33100L10reset_infoIiiiEEvPT_T0_T1_S4_.private_seg_size, 0
	.set _ZN9rocsolver6v33100L10reset_infoIiiiEEvPT_T0_T1_S4_.uses_vcc, 1
	.set _ZN9rocsolver6v33100L10reset_infoIiiiEEvPT_T0_T1_S4_.uses_flat_scratch, 0
	.set _ZN9rocsolver6v33100L10reset_infoIiiiEEvPT_T0_T1_S4_.has_dyn_sized_stack, 0
	.set _ZN9rocsolver6v33100L10reset_infoIiiiEEvPT_T0_T1_S4_.has_recursion, 0
	.set _ZN9rocsolver6v33100L10reset_infoIiiiEEvPT_T0_T1_S4_.has_indirect_call, 0
	.section	.AMDGPU.csdata,"",@progbits
; Kernel info:
; codeLenInByte = 108
; TotalNumSgprs: 12
; NumVgprs: 4
; ScratchSize: 0
; MemoryBound: 0
; FloatMode: 240
; IeeeMode: 1
; LDSByteSize: 0 bytes/workgroup (compile time only)
; SGPRBlocks: 1
; VGPRBlocks: 0
; NumSGPRsForWavesPerEU: 12
; NumVGPRsForWavesPerEU: 4
; Occupancy: 10
; WaveLimiterHint : 0
; COMPUTE_PGM_RSRC2:SCRATCH_EN: 0
; COMPUTE_PGM_RSRC2:USER_SGPR: 6
; COMPUTE_PGM_RSRC2:TRAP_HANDLER: 0
; COMPUTE_PGM_RSRC2:TGID_X_EN: 1
; COMPUTE_PGM_RSRC2:TGID_Y_EN: 0
; COMPUTE_PGM_RSRC2:TGID_Z_EN: 0
; COMPUTE_PGM_RSRC2:TIDIG_COMP_CNT: 0
	.section	.text._ZN9rocsolver6v33100L16reset_batch_infoIfiiPfEEvT2_lT0_T1_,"axG",@progbits,_ZN9rocsolver6v33100L16reset_batch_infoIfiiPfEEvT2_lT0_T1_,comdat
	.globl	_ZN9rocsolver6v33100L16reset_batch_infoIfiiPfEEvT2_lT0_T1_ ; -- Begin function _ZN9rocsolver6v33100L16reset_batch_infoIfiiPfEEvT2_lT0_T1_
	.p2align	8
	.type	_ZN9rocsolver6v33100L16reset_batch_infoIfiiPfEEvT2_lT0_T1_,@function
_ZN9rocsolver6v33100L16reset_batch_infoIfiiPfEEvT2_lT0_T1_: ; @_ZN9rocsolver6v33100L16reset_batch_infoIfiiPfEEvT2_lT0_T1_
; %bb.0:
	s_load_dword s2, s[4:5], 0x24
	s_load_dwordx2 s[0:1], s[4:5], 0x10
	s_waitcnt lgkmcnt(0)
	s_and_b32 s2, s2, 0xffff
	s_mul_i32 s6, s6, s2
	v_add_u32_e32 v0, s6, v0
	v_cmp_gt_i32_e32 vcc, s0, v0
	s_and_saveexec_b64 s[2:3], vcc
	s_cbranch_execz .LBB1_2
; %bb.1:
	s_load_dwordx4 s[8:11], s[4:5], 0x0
	s_ashr_i32 s0, s7, 31
	v_ashrrev_i32_e32 v1, 31, v0
	v_lshlrev_b64 v[0:1], 2, v[0:1]
	v_cvt_f32_i32_e32 v3, s1
	s_waitcnt lgkmcnt(0)
	s_mul_hi_u32 s3, s10, s7
	s_mul_i32 s0, s10, s0
	s_mul_i32 s4, s11, s7
	s_add_i32 s0, s3, s0
	s_mul_i32 s2, s10, s7
	s_add_i32 s3, s0, s4
	s_lshl_b64 s[2:3], s[2:3], 2
	s_add_u32 s0, s8, s2
	s_addc_u32 s2, s9, s3
	v_mov_b32_e32 v2, s2
	v_add_co_u32_e32 v0, vcc, s0, v0
	v_addc_co_u32_e32 v1, vcc, v2, v1, vcc
	global_store_dword v[0:1], v3, off
.LBB1_2:
	s_endpgm
	.section	.rodata,"a",@progbits
	.p2align	6, 0x0
	.amdhsa_kernel _ZN9rocsolver6v33100L16reset_batch_infoIfiiPfEEvT2_lT0_T1_
		.amdhsa_group_segment_fixed_size 0
		.amdhsa_private_segment_fixed_size 0
		.amdhsa_kernarg_size 280
		.amdhsa_user_sgpr_count 6
		.amdhsa_user_sgpr_private_segment_buffer 1
		.amdhsa_user_sgpr_dispatch_ptr 0
		.amdhsa_user_sgpr_queue_ptr 0
		.amdhsa_user_sgpr_kernarg_segment_ptr 1
		.amdhsa_user_sgpr_dispatch_id 0
		.amdhsa_user_sgpr_flat_scratch_init 0
		.amdhsa_user_sgpr_private_segment_size 0
		.amdhsa_uses_dynamic_stack 0
		.amdhsa_system_sgpr_private_segment_wavefront_offset 0
		.amdhsa_system_sgpr_workgroup_id_x 1
		.amdhsa_system_sgpr_workgroup_id_y 1
		.amdhsa_system_sgpr_workgroup_id_z 0
		.amdhsa_system_sgpr_workgroup_info 0
		.amdhsa_system_vgpr_workitem_id 0
		.amdhsa_next_free_vgpr 4
		.amdhsa_next_free_sgpr 12
		.amdhsa_reserve_vcc 1
		.amdhsa_reserve_flat_scratch 0
		.amdhsa_float_round_mode_32 0
		.amdhsa_float_round_mode_16_64 0
		.amdhsa_float_denorm_mode_32 3
		.amdhsa_float_denorm_mode_16_64 3
		.amdhsa_dx10_clamp 1
		.amdhsa_ieee_mode 1
		.amdhsa_fp16_overflow 0
		.amdhsa_exception_fp_ieee_invalid_op 0
		.amdhsa_exception_fp_denorm_src 0
		.amdhsa_exception_fp_ieee_div_zero 0
		.amdhsa_exception_fp_ieee_overflow 0
		.amdhsa_exception_fp_ieee_underflow 0
		.amdhsa_exception_fp_ieee_inexact 0
		.amdhsa_exception_int_div_zero 0
	.end_amdhsa_kernel
	.section	.text._ZN9rocsolver6v33100L16reset_batch_infoIfiiPfEEvT2_lT0_T1_,"axG",@progbits,_ZN9rocsolver6v33100L16reset_batch_infoIfiiPfEEvT2_lT0_T1_,comdat
.Lfunc_end1:
	.size	_ZN9rocsolver6v33100L16reset_batch_infoIfiiPfEEvT2_lT0_T1_, .Lfunc_end1-_ZN9rocsolver6v33100L16reset_batch_infoIfiiPfEEvT2_lT0_T1_
                                        ; -- End function
	.set _ZN9rocsolver6v33100L16reset_batch_infoIfiiPfEEvT2_lT0_T1_.num_vgpr, 4
	.set _ZN9rocsolver6v33100L16reset_batch_infoIfiiPfEEvT2_lT0_T1_.num_agpr, 0
	.set _ZN9rocsolver6v33100L16reset_batch_infoIfiiPfEEvT2_lT0_T1_.numbered_sgpr, 12
	.set _ZN9rocsolver6v33100L16reset_batch_infoIfiiPfEEvT2_lT0_T1_.num_named_barrier, 0
	.set _ZN9rocsolver6v33100L16reset_batch_infoIfiiPfEEvT2_lT0_T1_.private_seg_size, 0
	.set _ZN9rocsolver6v33100L16reset_batch_infoIfiiPfEEvT2_lT0_T1_.uses_vcc, 1
	.set _ZN9rocsolver6v33100L16reset_batch_infoIfiiPfEEvT2_lT0_T1_.uses_flat_scratch, 0
	.set _ZN9rocsolver6v33100L16reset_batch_infoIfiiPfEEvT2_lT0_T1_.has_dyn_sized_stack, 0
	.set _ZN9rocsolver6v33100L16reset_batch_infoIfiiPfEEvT2_lT0_T1_.has_recursion, 0
	.set _ZN9rocsolver6v33100L16reset_batch_infoIfiiPfEEvT2_lT0_T1_.has_indirect_call, 0
	.section	.AMDGPU.csdata,"",@progbits
; Kernel info:
; codeLenInByte = 140
; TotalNumSgprs: 16
; NumVgprs: 4
; ScratchSize: 0
; MemoryBound: 0
; FloatMode: 240
; IeeeMode: 1
; LDSByteSize: 0 bytes/workgroup (compile time only)
; SGPRBlocks: 1
; VGPRBlocks: 0
; NumSGPRsForWavesPerEU: 16
; NumVGPRsForWavesPerEU: 4
; Occupancy: 10
; WaveLimiterHint : 0
; COMPUTE_PGM_RSRC2:SCRATCH_EN: 0
; COMPUTE_PGM_RSRC2:USER_SGPR: 6
; COMPUTE_PGM_RSRC2:TRAP_HANDLER: 0
; COMPUTE_PGM_RSRC2:TGID_X_EN: 1
; COMPUTE_PGM_RSRC2:TGID_Y_EN: 1
; COMPUTE_PGM_RSRC2:TGID_Z_EN: 0
; COMPUTE_PGM_RSRC2:TIDIG_COMP_CNT: 0
	.section	.text._ZN9rocsolver6v33100L10init_identIfPfEEviiT0_iil,"axG",@progbits,_ZN9rocsolver6v33100L10init_identIfPfEEviiT0_iil,comdat
	.globl	_ZN9rocsolver6v33100L10init_identIfPfEEviiT0_iil ; -- Begin function _ZN9rocsolver6v33100L10init_identIfPfEEviiT0_iil
	.p2align	8
	.type	_ZN9rocsolver6v33100L10init_identIfPfEEviiT0_iil,@function
_ZN9rocsolver6v33100L10init_identIfPfEEviiT0_iil: ; @_ZN9rocsolver6v33100L10init_identIfPfEEviiT0_iil
; %bb.0:
	s_load_dword s2, s[4:5], 0x2c
	s_load_dwordx2 s[0:1], s[4:5], 0x0
	s_waitcnt lgkmcnt(0)
	s_lshr_b32 s3, s2, 16
	s_and_b32 s2, s2, 0xffff
	s_mul_i32 s6, s6, s2
	s_mul_i32 s7, s7, s3
	v_add_u32_e32 v2, s6, v0
	v_add_u32_e32 v1, s7, v1
	v_cmp_gt_u32_e32 vcc, s0, v2
	v_cmp_gt_u32_e64 s[0:1], s1, v1
	s_and_b64 s[0:1], vcc, s[0:1]
	s_and_saveexec_b64 s[2:3], s[0:1]
	s_cbranch_execz .LBB2_6
; %bb.1:
	s_load_dwordx2 s[0:1], s[4:5], 0x10
	v_cmp_ne_u32_e32 vcc, v2, v1
                                        ; implicit-def: $vgpr0
	s_and_saveexec_b64 s[2:3], vcc
	s_xor_b64 s[2:3], exec, s[2:3]
	s_cbranch_execz .LBB2_3
; %bb.2:
	s_waitcnt lgkmcnt(0)
	v_mad_u64_u32 v[0:1], s[6:7], v1, s1, v[2:3]
                                        ; implicit-def: $vgpr2
.LBB2_3:
	s_or_saveexec_b64 s[2:3], s[2:3]
	v_mov_b32_e32 v1, 0
	v_mov_b32_e32 v3, 0
	s_xor_b64 exec, exec, s[2:3]
	s_cbranch_execz .LBB2_5
; %bb.4:
	s_waitcnt lgkmcnt(0)
	v_mad_u64_u32 v[2:3], s[6:7], v2, s1, v[2:3]
	v_mov_b32_e32 v3, 1.0
	v_mov_b32_e32 v0, v2
.LBB2_5:
	s_or_b64 exec, exec, s[2:3]
	s_load_dwordx2 s[2:3], s[4:5], 0x18
	s_load_dwordx2 s[6:7], s[4:5], 0x8
	s_waitcnt lgkmcnt(0)
	s_ashr_i32 s1, s0, 31
	v_lshlrev_b64 v[0:1], 2, v[0:1]
	s_mul_i32 s3, s3, s8
	s_mul_hi_u32 s4, s2, s8
	s_mul_i32 s2, s2, s8
	s_add_i32 s3, s4, s3
	s_lshl_b64 s[2:3], s[2:3], 2
	s_add_u32 s2, s6, s2
	s_addc_u32 s3, s7, s3
	s_lshl_b64 s[0:1], s[0:1], 2
	s_add_u32 s0, s2, s0
	s_addc_u32 s1, s3, s1
	v_mov_b32_e32 v2, s1
	v_add_co_u32_e32 v0, vcc, s0, v0
	v_addc_co_u32_e32 v1, vcc, v2, v1, vcc
	global_store_dword v[0:1], v3, off
.LBB2_6:
	s_endpgm
	.section	.rodata,"a",@progbits
	.p2align	6, 0x0
	.amdhsa_kernel _ZN9rocsolver6v33100L10init_identIfPfEEviiT0_iil
		.amdhsa_group_segment_fixed_size 0
		.amdhsa_private_segment_fixed_size 0
		.amdhsa_kernarg_size 288
		.amdhsa_user_sgpr_count 6
		.amdhsa_user_sgpr_private_segment_buffer 1
		.amdhsa_user_sgpr_dispatch_ptr 0
		.amdhsa_user_sgpr_queue_ptr 0
		.amdhsa_user_sgpr_kernarg_segment_ptr 1
		.amdhsa_user_sgpr_dispatch_id 0
		.amdhsa_user_sgpr_flat_scratch_init 0
		.amdhsa_user_sgpr_private_segment_size 0
		.amdhsa_uses_dynamic_stack 0
		.amdhsa_system_sgpr_private_segment_wavefront_offset 0
		.amdhsa_system_sgpr_workgroup_id_x 1
		.amdhsa_system_sgpr_workgroup_id_y 1
		.amdhsa_system_sgpr_workgroup_id_z 1
		.amdhsa_system_sgpr_workgroup_info 0
		.amdhsa_system_vgpr_workitem_id 1
		.amdhsa_next_free_vgpr 4
		.amdhsa_next_free_sgpr 9
		.amdhsa_reserve_vcc 1
		.amdhsa_reserve_flat_scratch 0
		.amdhsa_float_round_mode_32 0
		.amdhsa_float_round_mode_16_64 0
		.amdhsa_float_denorm_mode_32 3
		.amdhsa_float_denorm_mode_16_64 3
		.amdhsa_dx10_clamp 1
		.amdhsa_ieee_mode 1
		.amdhsa_fp16_overflow 0
		.amdhsa_exception_fp_ieee_invalid_op 0
		.amdhsa_exception_fp_denorm_src 0
		.amdhsa_exception_fp_ieee_div_zero 0
		.amdhsa_exception_fp_ieee_overflow 0
		.amdhsa_exception_fp_ieee_underflow 0
		.amdhsa_exception_fp_ieee_inexact 0
		.amdhsa_exception_int_div_zero 0
	.end_amdhsa_kernel
	.section	.text._ZN9rocsolver6v33100L10init_identIfPfEEviiT0_iil,"axG",@progbits,_ZN9rocsolver6v33100L10init_identIfPfEEviiT0_iil,comdat
.Lfunc_end2:
	.size	_ZN9rocsolver6v33100L10init_identIfPfEEviiT0_iil, .Lfunc_end2-_ZN9rocsolver6v33100L10init_identIfPfEEviiT0_iil
                                        ; -- End function
	.set _ZN9rocsolver6v33100L10init_identIfPfEEviiT0_iil.num_vgpr, 4
	.set _ZN9rocsolver6v33100L10init_identIfPfEEviiT0_iil.num_agpr, 0
	.set _ZN9rocsolver6v33100L10init_identIfPfEEviiT0_iil.numbered_sgpr, 9
	.set _ZN9rocsolver6v33100L10init_identIfPfEEviiT0_iil.num_named_barrier, 0
	.set _ZN9rocsolver6v33100L10init_identIfPfEEviiT0_iil.private_seg_size, 0
	.set _ZN9rocsolver6v33100L10init_identIfPfEEviiT0_iil.uses_vcc, 1
	.set _ZN9rocsolver6v33100L10init_identIfPfEEviiT0_iil.uses_flat_scratch, 0
	.set _ZN9rocsolver6v33100L10init_identIfPfEEviiT0_iil.has_dyn_sized_stack, 0
	.set _ZN9rocsolver6v33100L10init_identIfPfEEviiT0_iil.has_recursion, 0
	.set _ZN9rocsolver6v33100L10init_identIfPfEEviiT0_iil.has_indirect_call, 0
	.section	.AMDGPU.csdata,"",@progbits
; Kernel info:
; codeLenInByte = 248
; TotalNumSgprs: 13
; NumVgprs: 4
; ScratchSize: 0
; MemoryBound: 0
; FloatMode: 240
; IeeeMode: 1
; LDSByteSize: 0 bytes/workgroup (compile time only)
; SGPRBlocks: 1
; VGPRBlocks: 0
; NumSGPRsForWavesPerEU: 13
; NumVGPRsForWavesPerEU: 4
; Occupancy: 10
; WaveLimiterHint : 0
; COMPUTE_PGM_RSRC2:SCRATCH_EN: 0
; COMPUTE_PGM_RSRC2:USER_SGPR: 6
; COMPUTE_PGM_RSRC2:TRAP_HANDLER: 0
; COMPUTE_PGM_RSRC2:TGID_X_EN: 1
; COMPUTE_PGM_RSRC2:TGID_Y_EN: 1
; COMPUTE_PGM_RSRC2:TGID_Z_EN: 1
; COMPUTE_PGM_RSRC2:TIDIG_COMP_CNT: 1
	.section	.text._ZN9rocsolver6v33100L12sterf_kernelIfEEviPT_lS3_lPiS4_iS2_S2_S2_,"axG",@progbits,_ZN9rocsolver6v33100L12sterf_kernelIfEEviPT_lS3_lPiS4_iS2_S2_S2_,comdat
	.globl	_ZN9rocsolver6v33100L12sterf_kernelIfEEviPT_lS3_lPiS4_iS2_S2_S2_ ; -- Begin function _ZN9rocsolver6v33100L12sterf_kernelIfEEviPT_lS3_lPiS4_iS2_S2_S2_
	.p2align	8
	.type	_ZN9rocsolver6v33100L12sterf_kernelIfEEviPT_lS3_lPiS4_iS2_S2_S2_,@function
_ZN9rocsolver6v33100L12sterf_kernelIfEEviPT_lS3_lPiS4_iS2_S2_S2_: ; @_ZN9rocsolver6v33100L12sterf_kernelIfEEviPT_lS3_lPiS4_iS2_S2_S2_
; %bb.0:
	s_load_dwordx8 s[12:19], s[4:5], 0x8
	s_load_dword s33, s[4:5], 0x0
	s_load_dwordx4 s[20:23], s[4:5], 0x38
	s_ashr_i32 s7, s6, 31
	s_waitcnt lgkmcnt(0)
	s_mul_hi_u32 s0, s14, s6
	s_mul_i32 s1, s14, s7
	s_add_i32 s0, s0, s1
	s_mul_i32 s1, s15, s6
	s_add_i32 s1, s0, s1
	s_mul_i32 s0, s14, s6
	s_lshl_b64 s[10:11], s[0:1], 2
	s_add_u32 s54, s12, s10
	s_mul_hi_u32 s0, s18, s6
	s_mul_i32 s1, s18, s7
	s_addc_u32 s55, s13, s11
	s_add_i32 s0, s0, s1
	s_mul_i32 s1, s19, s6
	s_add_i32 s1, s0, s1
	s_mul_i32 s0, s18, s6
	s_lshl_b64 s[0:1], s[0:1], 2
	s_add_u32 s14, s16, s0
	s_addc_u32 s15, s17, s1
	s_min_i32 s2, s33, s20
	s_cmp_lt_i32 s2, 1
	s_cbranch_scc1 .LBB3_148
; %bb.1:
	s_add_i32 s56, s33, -1
	s_add_u32 s57, s16, s0
	s_addc_u32 s58, s17, s1
	s_add_u32 s59, s57, -4
	s_addc_u32 s60, s58, -1
	s_add_u32 s61, s12, s10
	s_addc_u32 s62, s13, s11
	s_add_u32 s63, s61, 4
	s_addc_u32 s64, s62, 0
	s_add_u32 s65, s57, 4
	s_mov_b32 s16, 0x667f3bcd
	v_mul_f32_e64 v0, s21, s21
	s_addc_u32 s66, s58, 0
	s_mov_b32 s67, 0
	v_mov_b32_e32 v1, 0
	s_mov_b32 s68, 0xf800000
	s_mov_b32 s69, 0x4f800000
	v_mov_b32_e32 v2, 0x260
	s_mov_b32 s17, 0x3ff6a09e
	s_mov_b32 s19, 0
	;; [unrolled: 1-line block ×3, first 2 shown]
	s_branch .LBB3_3
.LBB3_2:                                ;   in Loop: Header=BB3_3 Depth=1
	s_andn2_b64 vcc, exec, s[8:9]
	s_cbranch_vccz .LBB3_20
.LBB3_3:                                ; =>This Loop Header: Depth=1
                                        ;     Child Loop BB3_7 Depth 2
                                        ;     Child Loop BB3_14 Depth 2
	;; [unrolled: 1-line block ×6, first 2 shown]
                                        ;       Child Loop BB3_56 Depth 3
                                        ;       Child Loop BB3_68 Depth 3
                                        ;     Child Loop BB3_102 Depth 2
                                        ;       Child Loop BB3_104 Depth 3
                                        ;       Child Loop BB3_117 Depth 3
                                        ;     Child Loop BB3_46 Depth 2
                                        ;     Child Loop BB3_50 Depth 2
	s_mov_b32 s18, s19
	s_cmp_lt_i32 s19, 1
	s_cbranch_scc1 .LBB3_5
; %bb.4:                                ;   in Loop: Header=BB3_3 Depth=1
	s_mov_b32 s19, s67
	s_lshl_b64 s[0:1], s[18:19], 2
	s_add_u32 s0, s14, s0
	s_addc_u32 s1, s15, s1
	global_store_dword v1, v1, s[0:1] offset:-4
.LBB3_5:                                ;   in Loop: Header=BB3_3 Depth=1
	s_ashr_i32 s19, s18, 31
	s_lshl_b64 s[26:27], s[18:19], 2
	s_add_u32 s0, s59, s26
	s_addc_u32 s1, s60, s27
	s_add_u32 s8, s63, s26
	s_addc_u32 s9, s64, s27
	s_mov_b32 s24, s18
	s_mov_b64 s[28:29], -1
	s_cmp_ge_i32 s24, s56
	s_mov_b64 s[2:3], -1
                                        ; implicit-def: $sgpr19
	s_cbranch_scc1 .LBB3_7
.LBB3_6:                                ;   in Loop: Header=BB3_3 Depth=1
	global_load_dwordx2 v[3:4], v1, s[8:9] offset:-4
	global_load_dword v5, v1, s[0:1] offset:4
	s_add_u32 s30, s0, 4
	s_addc_u32 s31, s1, 0
	s_add_i32 s19, s24, 1
	s_add_u32 s8, s8, 4
	s_mov_b64 s[28:29], 0
	s_addc_u32 s9, s9, 0
	s_waitcnt vmcnt(1)
	v_mul_f32_e64 v6, |v3|, s69
	v_cmp_lt_f32_e64 vcc, |v3|, s68
	v_mul_f32_e64 v7, |v4|, s69
	v_cndmask_b32_e64 v3, |v3|, v6, vcc
	v_cmp_lt_f32_e64 s[0:1], |v4|, s68
	v_sqrt_f32_e32 v6, v3
	v_cndmask_b32_e64 v4, |v4|, v7, s[0:1]
	v_sqrt_f32_e32 v7, v4
	v_add_u32_e32 v8, -1, v6
	v_fma_f32 v12, -v8, v6, v3
	v_add_u32_e32 v10, -1, v7
	v_add_u32_e32 v9, 1, v6
	v_fma_f32 v14, -v10, v7, v4
	v_cmp_ge_f32_e64 s[2:3], 0, v12
	v_add_u32_e32 v11, 1, v7
	v_fma_f32 v13, -v9, v6, v3
	v_cndmask_b32_e64 v6, v6, v8, s[2:3]
	v_cmp_ge_f32_e64 s[2:3], 0, v14
	v_fma_f32 v15, -v11, v7, v4
	v_cndmask_b32_e64 v7, v7, v10, s[2:3]
	v_cmp_lt_f32_e64 s[2:3], 0, v13
	v_cndmask_b32_e64 v6, v6, v9, s[2:3]
	v_cmp_lt_f32_e64 s[2:3], 0, v15
	v_cndmask_b32_e64 v7, v7, v11, s[2:3]
	v_mul_f32_e32 v8, 0x37800000, v6
	v_mul_f32_e32 v9, 0x37800000, v7
	v_cndmask_b32_e32 v6, v6, v8, vcc
	v_cmp_class_f32_e32 vcc, v3, v2
	v_cndmask_b32_e64 v7, v7, v9, s[0:1]
	v_cndmask_b32_e32 v3, v6, v3, vcc
	v_cmp_class_f32_e32 vcc, v4, v2
	v_cndmask_b32_e32 v4, v7, v4, vcc
	v_mul_f32_e32 v3, v3, v4
	v_mul_f32_e32 v3, s21, v3
	s_waitcnt vmcnt(0)
	v_cmp_le_f32_e64 s[2:3], |v5|, v3
	s_mov_b64 s[0:1], s[30:31]
.LBB3_7:                                ;   Parent Loop BB3_3 Depth=1
                                        ; =>  This Inner Loop Header: Depth=2
	s_andn2_b64 vcc, exec, s[2:3]
	s_cbranch_vccz .LBB3_9
; %bb.8:                                ;   in Loop: Header=BB3_7 Depth=2
	s_mov_b32 s24, s19
	s_mov_b64 s[28:29], -1
	s_cmp_ge_i32 s24, s56
	s_mov_b64 s[2:3], -1
                                        ; implicit-def: $sgpr19
	s_cbranch_scc0 .LBB3_6
	s_branch .LBB3_7
.LBB3_9:                                ;   in Loop: Header=BB3_3 Depth=1
	s_andn2_b64 vcc, exec, s[28:29]
	s_mov_b64 s[2:3], -1
	s_cbranch_vccnz .LBB3_16
; %bb.10:                               ;   in Loop: Header=BB3_3 Depth=1
	s_andn2_b64 vcc, exec, s[2:3]
	s_cbranch_vccz .LBB3_17
.LBB3_11:                               ;   in Loop: Header=BB3_3 Depth=1
	s_cmp_lg_u32 s24, s18
	s_mov_b64 s[2:3], -1
	s_cbranch_scc0 .LBB3_18
.LBB3_12:                               ;   in Loop: Header=BB3_3 Depth=1
	s_ashr_i32 s25, s24, 31
	s_lshl_b64 s[0:1], s[24:25], 2
	s_add_u32 s28, s54, s0
	s_addc_u32 s29, s55, s1
	global_load_dword v4, v1, s[28:29]
	s_cmp_lt_i32 s18, s24
	s_cselect_b64 s[0:1], -1, 0
	s_cmp_ge_i32 s18, s24
	s_waitcnt vmcnt(0)
	v_and_b32_e32 v3, 0x7fffffff, v4
	s_cbranch_scc1 .LBB3_15
; %bb.13:                               ;   in Loop: Header=BB3_3 Depth=1
	s_add_u32 s8, s61, s26
	s_addc_u32 s9, s62, s27
	s_add_u32 s30, s57, s26
	s_addc_u32 s31, s58, s27
	s_mov_b32 s25, s18
.LBB3_14:                               ;   Parent Loop BB3_3 Depth=1
                                        ; =>  This Inner Loop Header: Depth=2
	global_load_dword v5, v1, s[8:9]
	global_load_dword v6, v1, s[30:31]
	s_add_i32 s25, s25, 1
	s_add_u32 s8, s8, 4
	s_addc_u32 s9, s9, 0
	s_add_u32 s30, s30, 4
	s_addc_u32 s31, s31, 0
	s_cmp_lt_i32 s25, s24
	s_waitcnt vmcnt(0)
	v_max3_f32 v3, v3, |v5|, |v6|
	s_cbranch_scc1 .LBB3_14
.LBB3_15:                               ;   in Loop: Header=BB3_3 Depth=1
	v_cmp_eq_f32_e64 s[8:9], 0, v3
	s_and_b64 vcc, exec, s[8:9]
	s_mov_b64 s[8:9], -1
	s_cbranch_vccz .LBB3_2
	s_branch .LBB3_19
.LBB3_16:                               ;   in Loop: Header=BB3_3 Depth=1
	global_store_dword v1, v1, s[0:1]
	s_cbranch_execnz .LBB3_11
.LBB3_17:                               ;   in Loop: Header=BB3_3 Depth=1
	s_max_i32 s24, s18, s56
	s_add_i32 s19, s24, 1
	s_cmp_lg_u32 s24, s18
	s_mov_b64 s[2:3], -1
	s_cbranch_scc1 .LBB3_12
.LBB3_18:                               ;   in Loop: Header=BB3_3 Depth=1
                                        ; implicit-def: $sgpr28_sgpr29
                                        ; implicit-def: $vgpr4
                                        ; implicit-def: $sgpr0_sgpr1
                                        ; implicit-def: $vgpr3
	s_mov_b64 s[8:9], -1
	s_cbranch_execz .LBB3_2
.LBB3_19:                               ;   in Loop: Header=BB3_3 Depth=1
	s_cmp_ge_i32 s19, s33
	s_mov_b64 s[2:3], 0
	s_cselect_b64 s[8:9], -1, 0
	s_branch .LBB3_2
.LBB3_20:                               ;   in Loop: Header=BB3_3 Depth=1
	s_mov_b64 s[8:9], -1
	s_and_b64 vcc, exec, s[2:3]
                                        ; implicit-def: $sgpr31
	s_cbranch_vccz .LBB3_52
; %bb.21:                               ;   in Loop: Header=BB3_3 Depth=1
	v_cmp_nlt_f32_e32 vcc, s23, v3
	s_cbranch_vccz .LBB3_27
; %bb.22:                               ;   in Loop: Header=BB3_3 Depth=1
	v_cmp_gt_f32_e32 vcc, s22, v3
	s_mov_b64 s[2:3], -1
	s_cbranch_vccz .LBB3_28
; %bb.23:                               ;   in Loop: Header=BB3_3 Depth=1
	v_div_scale_f32 v5, s[2:3], s22, s22, v3
	v_div_scale_f32 v6, vcc, v3, s22, v3
	s_mov_b64 s[2:3], 0
	v_rcp_f32_e32 v7, v5
	v_fma_f32 v8, -v5, v7, 1.0
	v_fmac_f32_e32 v7, v8, v7
	v_mul_f32_e32 v8, v6, v7
	v_fma_f32 v9, -v5, v8, v6
	v_fmac_f32_e32 v8, v9, v7
	v_fma_f32 v5, -v5, v8, v6
	v_div_fmas_f32 v5, v5, v7, v8
	s_and_b64 vcc, exec, s[0:1]
	v_div_fixup_f32 v5, v5, s22, v3
	s_waitcnt vmcnt(0)
	v_mul_f32_e32 v6, v4, v5
	global_store_dword v1, v6, s[28:29]
	s_cbranch_vccz .LBB3_28
; %bb.24:                               ;   in Loop: Header=BB3_3 Depth=1
	s_add_u32 s2, s61, s26
	s_addc_u32 s3, s62, s27
	s_add_u32 s8, s57, s26
	s_addc_u32 s9, s58, s27
	s_mov_b32 s25, s18
.LBB3_25:                               ;   Parent Loop BB3_3 Depth=1
                                        ; =>  This Inner Loop Header: Depth=2
	global_load_dword v6, v1, s[2:3]
	s_add_i32 s25, s25, 1
	s_waitcnt vmcnt(0)
	v_mul_f32_e32 v6, v5, v6
	global_store_dword v1, v6, s[2:3]
	global_load_dword v6, v1, s[8:9]
	s_add_u32 s2, s2, 4
	s_addc_u32 s3, s3, 0
	s_waitcnt vmcnt(0)
	v_mul_f32_e32 v6, v5, v6
	global_store_dword v1, v6, s[8:9]
	s_add_u32 s8, s8, 4
	s_addc_u32 s9, s9, 0
	s_cmp_lt_i32 s25, s24
	s_cbranch_scc1 .LBB3_25
; %bb.26:                               ;   in Loop: Header=BB3_3 Depth=1
	s_mov_b64 s[2:3], -1
	s_branch .LBB3_33
.LBB3_27:                               ;   in Loop: Header=BB3_3 Depth=1
	s_mov_b64 s[2:3], 0
	s_and_b64 vcc, exec, s[8:9]
	s_cbranch_vccnz .LBB3_29
	s_branch .LBB3_33
.LBB3_28:                               ;   in Loop: Header=BB3_3 Depth=1
	s_branch .LBB3_33
.LBB3_29:                               ;   in Loop: Header=BB3_3 Depth=1
	v_div_scale_f32 v5, s[8:9], s23, s23, v3
	v_div_scale_f32 v6, vcc, v3, s23, v3
	v_rcp_f32_e32 v7, v5
	v_fma_f32 v8, -v5, v7, 1.0
	v_fmac_f32_e32 v7, v8, v7
	v_mul_f32_e32 v8, v6, v7
	v_fma_f32 v9, -v5, v8, v6
	v_fmac_f32_e32 v8, v9, v7
	v_fma_f32 v5, -v5, v8, v6
	v_div_fmas_f32 v5, v5, v7, v8
	s_and_b64 vcc, exec, s[0:1]
	v_div_fixup_f32 v5, v5, s23, v3
	s_waitcnt vmcnt(0)
	v_mul_f32_e32 v4, v4, v5
	global_store_dword v1, v4, s[28:29]
	s_cbranch_vccz .LBB3_33
; %bb.30:                               ;   in Loop: Header=BB3_3 Depth=1
	s_add_u32 s2, s61, s26
	s_addc_u32 s3, s62, s27
	s_add_u32 s8, s57, s26
	s_addc_u32 s9, s58, s27
	s_mov_b32 s25, s18
.LBB3_31:                               ;   Parent Loop BB3_3 Depth=1
                                        ; =>  This Inner Loop Header: Depth=2
	global_load_dword v4, v1, s[2:3]
	s_add_i32 s25, s25, 1
	s_waitcnt vmcnt(0)
	v_mul_f32_e32 v4, v5, v4
	global_store_dword v1, v4, s[2:3]
	global_load_dword v4, v1, s[8:9]
	s_add_u32 s2, s2, 4
	s_addc_u32 s3, s3, 0
	s_waitcnt vmcnt(0)
	v_mul_f32_e32 v4, v5, v4
	global_store_dword v1, v4, s[8:9]
	s_add_u32 s8, s8, 4
	s_addc_u32 s9, s9, 0
	s_cmp_ge_i32 s25, s24
	s_cbranch_scc0 .LBB3_31
; %bb.32:                               ;   in Loop: Header=BB3_3 Depth=1
	s_mov_b64 s[2:3], -1
.LBB3_33:                               ;   in Loop: Header=BB3_3 Depth=1
	s_waitcnt vmcnt(0)
	v_cndmask_b32_e64 v4, 0, 1, s[0:1]
	s_and_b64 vcc, exec, s[2:3]
	v_cmp_ne_u32_e64 s[0:1], 1, v4
	s_cbranch_vccz .LBB3_37
; %bb.34:                               ;   in Loop: Header=BB3_3 Depth=1
	s_and_b64 vcc, exec, s[0:1]
	s_cbranch_vccnz .LBB3_37
; %bb.35:                               ;   in Loop: Header=BB3_3 Depth=1
	s_add_u32 s2, s57, s26
	s_addc_u32 s3, s58, s27
	s_mov_b32 s8, s18
.LBB3_36:                               ;   Parent Loop BB3_3 Depth=1
                                        ; =>  This Inner Loop Header: Depth=2
	global_load_dword v4, v1, s[2:3]
	s_add_i32 s8, s8, 1
	s_waitcnt vmcnt(0)
	v_mul_f32_e32 v4, v4, v4
	global_store_dword v1, v4, s[2:3]
	s_add_u32 s2, s2, 4
	s_addc_u32 s3, s3, 0
	s_cmp_lt_i32 s8, s24
	s_cbranch_scc1 .LBB3_36
.LBB3_37:                               ;   in Loop: Header=BB3_3 Depth=1
	s_add_u32 s2, s54, s26
	s_addc_u32 s3, s55, s27
	global_load_dword v4, v1, s[28:29]
	global_load_dword v5, v1, s[2:3]
	s_mov_b64 s[8:9], -1
                                        ; implicit-def: $sgpr31
	s_waitcnt vmcnt(0)
	v_cmp_lt_f32_e64 s[2:3], |v4|, |v5|
	s_and_b64 s[2:3], s[2:3], exec
	s_cselect_b32 s25, s18, s24
	s_cselect_b32 s30, s24, s18
	s_cmp_lt_i32 s70, s20
	s_cselect_b64 s[2:3], -1, 0
	v_cndmask_b32_e64 v4, 0, 1, s[2:3]
	s_cmp_lt_i32 s25, s30
	v_cmp_ne_u32_e64 s[2:3], 1, v4
	s_cbranch_scc0 .LBB3_40
; %bb.38:                               ;   in Loop: Header=BB3_3 Depth=1
	s_andn2_b64 vcc, exec, s[8:9]
	s_cbranch_vccz .LBB3_42
.LBB3_39:                               ;   in Loop: Header=BB3_3 Depth=1
	v_cmp_lt_f32_e32 vcc, s23, v3
	s_andn2_b64 vcc, exec, vcc
	s_cbranch_vccz .LBB3_44
	s_branch .LBB3_47
.LBB3_40:                               ;   in Loop: Header=BB3_3 Depth=1
	s_and_b64 vcc, exec, s[2:3]
	s_mov_b32 s31, s70
	s_mov_b32 s34, s30
	s_cbranch_vccz .LBB3_54
.LBB3_41:                               ;   in Loop: Header=BB3_3 Depth=1
	s_cbranch_execnz .LBB3_39
.LBB3_42:                               ;   in Loop: Header=BB3_3 Depth=1
	s_and_b64 vcc, exec, s[2:3]
	s_cbranch_vccz .LBB3_102
.LBB3_43:                               ;   in Loop: Header=BB3_3 Depth=1
	s_mov_b32 s31, s70
	v_cmp_lt_f32_e32 vcc, s23, v3
	s_andn2_b64 vcc, exec, vcc
	s_cbranch_vccnz .LBB3_47
.LBB3_44:                               ;   in Loop: Header=BB3_3 Depth=1
	global_load_dword v5, v1, s[28:29]
	s_waitcnt vmcnt(1)
	v_div_scale_f32 v4, s[2:3], v3, v3, s23
	v_div_scale_f32 v6, vcc, s23, v3, s23
	v_rcp_f32_e32 v7, v4
	v_fma_f32 v8, -v4, v7, 1.0
	v_fmac_f32_e32 v7, v8, v7
	v_mul_f32_e32 v8, v6, v7
	v_fma_f32 v9, -v4, v8, v6
	v_fmac_f32_e32 v8, v9, v7
	v_fma_f32 v4, -v4, v8, v6
	v_div_fmas_f32 v4, v4, v7, v8
	s_and_b64 vcc, exec, s[0:1]
	v_div_fixup_f32 v4, v4, v3, s23
	s_waitcnt vmcnt(0)
	v_mul_f32_e32 v5, v4, v5
	global_store_dword v1, v5, s[28:29]
	s_cbranch_vccnz .LBB3_47
; %bb.45:                               ;   in Loop: Header=BB3_3 Depth=1
	s_add_u32 s2, s61, s26
	s_addc_u32 s3, s62, s27
	s_add_u32 s8, s57, s26
	s_addc_u32 s9, s58, s27
	s_mov_b32 s25, s18
.LBB3_46:                               ;   Parent Loop BB3_3 Depth=1
                                        ; =>  This Inner Loop Header: Depth=2
	global_load_dword v5, v1, s[2:3]
	s_add_i32 s25, s25, 1
	s_waitcnt vmcnt(0)
	v_mul_f32_e32 v5, v4, v5
	global_store_dword v1, v5, s[2:3]
	global_load_dword v5, v1, s[8:9]
	s_add_u32 s2, s2, 4
	s_addc_u32 s3, s3, 0
	s_waitcnt vmcnt(0)
	v_mul_f32_e32 v5, v4, v5
	global_store_dword v1, v5, s[8:9]
	s_add_u32 s8, s8, 4
	s_addc_u32 s9, s9, 0
	s_cmp_lt_i32 s25, s24
	s_cbranch_scc1 .LBB3_46
.LBB3_47:                               ;   in Loop: Header=BB3_3 Depth=1
	v_cmp_ngt_f32_e32 vcc, s22, v3
	s_cbranch_vccnz .LBB3_51
; %bb.48:                               ;   in Loop: Header=BB3_3 Depth=1
	global_load_dword v4, v1, s[28:29]
	v_div_scale_f32 v5, s[2:3], v3, v3, s22
	v_div_scale_f32 v6, vcc, s22, v3, s22
	v_rcp_f32_e32 v7, v5
	v_fma_f32 v8, -v5, v7, 1.0
	v_fmac_f32_e32 v7, v8, v7
	v_mul_f32_e32 v8, v6, v7
	v_fma_f32 v9, -v5, v8, v6
	v_fmac_f32_e32 v8, v9, v7
	v_fma_f32 v5, -v5, v8, v6
	v_div_fmas_f32 v5, v5, v7, v8
	s_and_b64 vcc, exec, s[0:1]
	v_div_fixup_f32 v3, v5, v3, s22
	s_waitcnt vmcnt(0)
	v_mul_f32_e32 v4, v3, v4
	global_store_dword v1, v4, s[28:29]
	s_cbranch_vccnz .LBB3_51
; %bb.49:                               ;   in Loop: Header=BB3_3 Depth=1
	s_add_u32 s0, s61, s26
	s_addc_u32 s1, s62, s27
	s_add_u32 s2, s57, s26
	s_addc_u32 s3, s58, s27
.LBB3_50:                               ;   Parent Loop BB3_3 Depth=1
                                        ; =>  This Inner Loop Header: Depth=2
	global_load_dword v4, v1, s[0:1]
	s_add_i32 s18, s18, 1
	s_waitcnt vmcnt(0)
	v_mul_f32_e32 v4, v3, v4
	global_store_dword v1, v4, s[0:1]
	global_load_dword v4, v1, s[2:3]
	s_add_u32 s0, s0, 4
	s_addc_u32 s1, s1, 0
	s_waitcnt vmcnt(0)
	v_mul_f32_e32 v4, v3, v4
	global_store_dword v1, v4, s[2:3]
	s_add_u32 s2, s2, 4
	s_addc_u32 s3, s3, 0
	s_cmp_lt_i32 s18, s24
	s_cbranch_scc1 .LBB3_50
.LBB3_51:                               ;   in Loop: Header=BB3_3 Depth=1
	s_cmp_ge_i32 s31, s20
	s_cselect_b64 s[0:1], -1, 0
	s_cmp_ge_i32 s19, s33
	s_cselect_b64 s[2:3], -1, 0
	s_or_b64 s[8:9], s[2:3], s[0:1]
.LBB3_52:                               ;   in Loop: Header=BB3_3 Depth=1
	s_and_b64 vcc, exec, s[8:9]
	s_mov_b32 s70, s31
	s_cbranch_vccz .LBB3_3
	s_branch .LBB3_148
.LBB3_53:                               ;   in Loop: Header=BB3_54 Depth=2
	s_andn2_b64 vcc, exec, s[36:37]
	s_cbranch_vccz .LBB3_41
.LBB3_54:                               ;   Parent Loop BB3_3 Depth=1
                                        ; =>  This Loop Header: Depth=2
                                        ;       Child Loop BB3_56 Depth 3
                                        ;       Child Loop BB3_68 Depth 3
	s_ashr_i32 s35, s34, 31
	s_max_i32 s40, s25, s34
	s_lshl_b64 s[42:43], s[34:35], 2
	s_add_u32 s8, s59, s42
	s_addc_u32 s9, s60, s43
	s_add_u32 s36, s63, s42
	s_addc_u32 s37, s64, s43
	s_mov_b32 s35, s34
	s_mov_b64 s[38:39], -1
	s_cmp_ge_i32 s35, s25
	s_mov_b64 s[44:45], -1
                                        ; implicit-def: $sgpr41
	s_cbranch_scc1 .LBB3_56
.LBB3_55:                               ;   in Loop: Header=BB3_54 Depth=2
	global_load_dwordx2 v[4:5], v1, s[36:37] offset:-4
	global_load_dword v6, v1, s[8:9] offset:4
	s_add_u32 s8, s8, 4
	s_addc_u32 s9, s9, 0
	s_add_i32 s41, s35, 1
	s_add_u32 s36, s36, 4
	s_mov_b64 s[38:39], 0
	s_addc_u32 s37, s37, 0
	s_waitcnt vmcnt(1)
	v_mul_f32_e32 v4, v4, v5
	v_mul_f32_e64 v4, v0, |v4|
	s_waitcnt vmcnt(0)
	v_cmp_le_f32_e64 s[44:45], |v6|, v4
.LBB3_56:                               ;   Parent Loop BB3_3 Depth=1
                                        ;     Parent Loop BB3_54 Depth=2
                                        ; =>    This Inner Loop Header: Depth=3
	s_andn2_b64 vcc, exec, s[44:45]
	s_cbranch_vccz .LBB3_58
; %bb.57:                               ;   in Loop: Header=BB3_56 Depth=3
	s_mov_b32 s35, s41
	s_mov_b64 s[38:39], -1
	s_cmp_ge_i32 s35, s25
	s_mov_b64 s[44:45], -1
                                        ; implicit-def: $sgpr41
	s_cbranch_scc0 .LBB3_55
	s_branch .LBB3_56
.LBB3_58:                               ;   in Loop: Header=BB3_54 Depth=2
	s_andn2_b64 vcc, exec, s[38:39]
	s_cbranch_vccz .LBB3_60
; %bb.59:                               ;   in Loop: Header=BB3_54 Depth=2
	s_mov_b32 s40, s35
	global_store_dword v1, v1, s[8:9]
.LBB3_60:                               ;   in Loop: Header=BB3_54 Depth=2
	s_add_i32 s8, s34, 1
	s_cmp_eq_u32 s40, s34
	s_mov_b64 s[36:37], -1
	s_cbranch_scc1 .LBB3_76
; %bb.61:                               ;   in Loop: Header=BB3_54 Depth=2
	s_add_u32 s38, s54, s42
	s_addc_u32 s39, s55, s43
	global_load_dword v4, v1, s[38:39]
	s_cmp_lg_u32 s40, s8
	s_cbranch_scc0 .LBB3_77
; %bb.62:                               ;   in Loop: Header=BB3_54 Depth=2
	s_mov_b64 s[44:45], 0
	s_cmp_lg_u32 s31, s20
	s_mov_b32 s35, s20
	s_mov_b64 s[8:9], 0
	s_cbranch_scc0 .LBB3_78
; %bb.63:                               ;   in Loop: Header=BB3_54 Depth=2
	s_add_u32 s46, s14, s42
	s_addc_u32 s47, s15, s43
	global_load_dword v5, v1, s[46:47]
	s_ashr_i32 s41, s40, 31
	s_lshl_b64 s[50:51], s[40:41], 2
	s_add_u32 s48, s54, s50
	s_addc_u32 s49, s55, s51
	global_load_dword v6, v1, s[48:49]
	global_load_dword v7, v1, s[38:39] offset:4
	s_cmp_le_i32 s40, s34
	s_waitcnt vmcnt(2)
	v_mul_f32_e32 v8, 0x4f800000, v5
	v_cmp_gt_f32_e32 vcc, s68, v5
	v_cndmask_b32_e32 v5, v5, v8, vcc
	v_sqrt_f32_e32 v8, v5
	s_waitcnt vmcnt(0)
	v_sub_f32_e32 v7, v7, v4
	v_add_u32_e32 v9, -1, v8
	v_add_u32_e32 v10, 1, v8
	v_fma_f32 v11, -v9, v8, v5
	v_fma_f32 v12, -v10, v8, v5
	v_cmp_ge_f32_e64 s[8:9], 0, v11
	v_cndmask_b32_e64 v8, v8, v9, s[8:9]
	v_cmp_lt_f32_e64 s[8:9], 0, v12
	v_cndmask_b32_e64 v8, v8, v10, s[8:9]
	v_mul_f32_e32 v9, 0x37800000, v8
	v_cndmask_b32_e32 v8, v8, v9, vcc
	v_cmp_class_f32_e32 vcc, v5, v2
	v_cndmask_b32_e32 v5, v8, v5, vcc
	v_add_f32_e32 v8, v5, v5
	v_div_scale_f32 v9, s[8:9], v8, v8, v7
	v_div_scale_f32 v10, vcc, v7, v8, v7
	v_rcp_f32_e32 v11, v9
	v_fma_f32 v12, -v9, v11, 1.0
	v_fmac_f32_e32 v11, v12, v11
	v_mul_f32_e32 v12, v10, v11
	v_fma_f32 v13, -v9, v12, v10
	v_fmac_f32_e32 v12, v13, v11
	v_fma_f32 v9, -v9, v12, v10
	v_div_fmas_f32 v9, v9, v11, v12
	v_div_fixup_f32 v7, v9, v8, v7
	v_fma_f32 v8, v7, v7, 1.0
	v_mul_f32_e32 v9, 0x4f800000, v8
	v_cmp_gt_f32_e32 vcc, s68, v8
	v_cndmask_b32_e32 v8, v8, v9, vcc
	v_sqrt_f32_e32 v9, v8
	v_add_u32_e32 v10, -1, v9
	v_add_u32_e32 v11, 1, v9
	v_fma_f32 v12, -v10, v9, v8
	v_fma_f32 v13, -v11, v9, v8
	v_cmp_ge_f32_e64 s[8:9], 0, v12
	v_cndmask_b32_e64 v9, v9, v10, s[8:9]
	v_cmp_lt_f32_e64 s[8:9], 0, v13
	v_cndmask_b32_e64 v9, v9, v11, s[8:9]
	v_mul_f32_e32 v10, 0x37800000, v9
	v_cndmask_b32_e32 v9, v9, v10, vcc
	v_cmp_class_f32_e32 vcc, v8, v2
	v_cndmask_b32_e32 v8, v9, v8, vcc
	v_cmp_nle_f32_e32 vcc, 0, v7
	v_cndmask_b32_e64 v8, |v8|, -|v8|, vcc
	v_add_f32_e32 v7, v7, v8
	v_div_scale_f32 v8, s[8:9], v7, v7, v5
	v_div_scale_f32 v9, vcc, v5, v7, v5
	v_rcp_f32_e32 v10, v8
	v_fma_f32 v11, -v8, v10, 1.0
	v_fmac_f32_e32 v10, v11, v10
	v_mul_f32_e32 v11, v9, v10
	v_fma_f32 v12, -v8, v11, v9
	v_fmac_f32_e32 v11, v12, v10
	v_fma_f32 v8, -v8, v11, v9
	v_div_fmas_f32 v8, v8, v10, v11
	v_div_fixup_f32 v5, v8, v7, v5
	v_sub_f32_e32 v5, v4, v5
	v_sub_f32_e32 v9, v6, v5
	v_mul_f32_e32 v8, v9, v9
	v_mov_b32_e32 v7, 0
	s_cbranch_scc1 .LBB3_98
; %bb.64:                               ;   in Loop: Header=BB3_54 Depth=2
	s_add_u32 s8, s14, s50
	s_addc_u32 s9, s15, s51
	global_load_dword v6, v1, s[8:9] offset:-4
	global_load_dword v11, v1, s[48:49] offset:-4
	s_waitcnt vmcnt(1)
	v_add_f32_e32 v7, v8, v6
	v_div_scale_f32 v10, s[8:9], v7, v7, v8
	v_div_scale_f32 v12, s[8:9], v7, v7, v6
	v_div_scale_f32 v13, vcc, v8, v7, v8
	v_div_scale_f32 v14, s[8:9], v6, v7, v6
	v_rcp_f32_e32 v15, v10
	v_rcp_f32_e32 v16, v12
	v_fma_f32 v17, -v10, v15, 1.0
	v_fmac_f32_e32 v15, v17, v15
	v_fma_f32 v18, -v12, v16, 1.0
	v_fmac_f32_e32 v16, v18, v16
	v_mul_f32_e32 v17, v13, v15
	v_mul_f32_e32 v18, v14, v16
	v_fma_f32 v19, -v10, v17, v13
	v_fma_f32 v20, -v12, v18, v14
	v_fmac_f32_e32 v17, v19, v15
	v_fmac_f32_e32 v18, v20, v16
	v_fma_f32 v10, -v10, v17, v13
	v_fma_f32 v12, -v12, v18, v14
	v_div_fmas_f32 v10, v10, v15, v17
	s_mov_b64 vcc, s[8:9]
	v_div_fmas_f32 v12, v12, v16, v18
	s_waitcnt vmcnt(0)
	v_sub_f32_e32 v13, v11, v5
	v_div_fixup_f32 v8, v10, v7, v8
	v_cmp_eq_f32_e32 vcc, 0, v8
	v_div_fixup_f32 v7, v12, v7, v6
	v_mul_f32_e32 v10, v9, v7
	v_fma_f32 v10, v8, v13, -v10
	v_sub_f32_e32 v11, v11, v10
	v_add_f32_e32 v9, v9, v11
	global_store_dword v1, v9, s[48:49]
	s_cbranch_vccnz .LBB3_66
; %bb.65:                               ;   in Loop: Header=BB3_54 Depth=2
	v_mul_f32_e32 v6, v10, v10
	v_div_scale_f32 v9, s[8:9], v8, v8, v6
	v_div_scale_f32 v11, vcc, v6, v8, v6
	v_rcp_f32_e32 v12, v9
	v_fma_f32 v13, -v9, v12, 1.0
	v_fmac_f32_e32 v12, v13, v12
	v_mul_f32_e32 v13, v11, v12
	v_fma_f32 v14, -v9, v13, v11
	v_fmac_f32_e32 v13, v14, v12
	v_fma_f32 v9, -v9, v13, v11
	v_div_fmas_f32 v9, v9, v12, v13
	v_div_fixup_f32 v6, v9, v8, v6
.LBB3_66:                               ;   in Loop: Header=BB3_54 Depth=2
	s_add_i32 s8, s40, -1
	s_cmp_le_i32 s8, s34
	s_cbranch_scc1 .LBB3_96
; %bb.67:                               ;   in Loop: Header=BB3_54 Depth=2
	s_add_i32 s8, s40, -2
	s_ashr_i32 s9, s8, 31
	s_lshl_b64 s[8:9], s[8:9], 2
	s_add_u32 s50, s63, s8
	s_addc_u32 s51, s64, s9
	s_add_u32 s52, s65, s8
	s_addc_u32 s53, s66, s9
	s_mov_b32 s35, -1
.LBB3_68:                               ;   Parent Loop BB3_3 Depth=1
                                        ;     Parent Loop BB3_54 Depth=2
                                        ; =>    This Inner Loop Header: Depth=3
	global_load_dword v11, v1, s[52:53] offset:-4
	s_add_u32 s48, s52, -4
	s_addc_u32 s49, s53, -1
	s_cmp_eq_u32 s35, 0
	s_waitcnt vmcnt(0)
	v_add_f32_e32 v9, v6, v11
	s_cbranch_scc1 .LBB3_70
; %bb.69:                               ;   in Loop: Header=BB3_68 Depth=3
	v_mul_f32_e32 v7, v7, v9
	global_store_dword v1, v7, s[52:53]
.LBB3_70:                               ;   in Loop: Header=BB3_68 Depth=3
	global_load_dword v13, v1, s[50:51] offset:-4
	v_div_scale_f32 v7, s[8:9], v9, v9, v6
	v_div_scale_f32 v12, s[8:9], v9, v9, v11
	v_div_scale_f32 v14, vcc, v6, v9, v6
	v_div_scale_f32 v15, s[8:9], v11, v9, v11
	v_rcp_f32_e32 v16, v7
	v_rcp_f32_e32 v17, v12
	v_fma_f32 v18, -v7, v16, 1.0
	v_fmac_f32_e32 v16, v18, v16
	v_fma_f32 v19, -v12, v17, 1.0
	v_fmac_f32_e32 v17, v19, v17
	v_mul_f32_e32 v18, v14, v16
	v_mul_f32_e32 v19, v15, v17
	v_fma_f32 v20, -v7, v18, v14
	v_fma_f32 v21, -v12, v19, v15
	v_fmac_f32_e32 v18, v20, v16
	v_fmac_f32_e32 v19, v21, v17
	v_fma_f32 v7, -v7, v18, v14
	v_fma_f32 v12, -v12, v19, v15
	v_div_fmas_f32 v7, v7, v16, v18
	s_mov_b64 vcc, s[8:9]
	v_div_fmas_f32 v14, v12, v17, v19
	s_add_u32 s8, s50, -4
	s_addc_u32 s9, s51, -1
	v_div_fixup_f32 v12, v7, v9, v6
	v_cmp_eq_f32_e32 vcc, 0, v12
	v_div_fixup_f32 v7, v14, v9, v11
	v_mul_f32_e32 v6, v10, v7
	s_and_b64 vcc, exec, vcc
	s_waitcnt vmcnt(0)
	v_sub_f32_e32 v9, v13, v5
	v_fma_f32 v9, v12, v9, -v6
	v_sub_f32_e32 v6, v13, v9
	v_add_f32_e32 v6, v10, v6
	global_store_dword v1, v6, s[50:51]
	s_cbranch_vccz .LBB3_75
; %bb.71:                               ;   in Loop: Header=BB3_68 Depth=3
	v_mul_f32_e32 v6, v8, v11
	s_cbranch_execnz .LBB3_73
.LBB3_72:                               ;   in Loop: Header=BB3_68 Depth=3
	v_mul_f32_e32 v6, v9, v9
	v_div_scale_f32 v8, s[50:51], v12, v12, v6
	v_div_scale_f32 v10, vcc, v6, v12, v6
	v_rcp_f32_e32 v11, v8
	v_fma_f32 v13, -v8, v11, 1.0
	v_fmac_f32_e32 v11, v13, v11
	v_mul_f32_e32 v13, v10, v11
	v_fma_f32 v14, -v8, v13, v10
	v_fmac_f32_e32 v13, v14, v11
	v_fma_f32 v8, -v8, v13, v10
	v_div_fmas_f32 v8, v8, v11, v13
	v_div_fixup_f32 v6, v8, v12, v6
.LBB3_73:                               ;   in Loop: Header=BB3_68 Depth=3
	s_add_i32 s35, s35, -1
	s_add_i32 s41, s40, s35
	s_cmp_le_i32 s41, s34
	s_cbranch_scc1 .LBB3_97
; %bb.74:                               ;   in Loop: Header=BB3_68 Depth=3
	s_mov_b64 s[52:53], s[48:49]
	s_mov_b64 s[50:51], s[8:9]
	v_mov_b32_e32 v8, v12
	v_mov_b32_e32 v10, v9
	s_branch .LBB3_68
.LBB3_75:                               ;   in Loop: Header=BB3_68 Depth=3
                                        ; implicit-def: $vgpr6
	s_branch .LBB3_72
.LBB3_76:                               ;   in Loop: Header=BB3_54 Depth=2
	s_mov_b32 s34, s8
	s_cbranch_execz .LBB3_53
	s_branch .LBB3_100
.LBB3_77:                               ;   in Loop: Header=BB3_54 Depth=2
	s_mov_b64 s[44:45], -1
	s_mov_b64 s[8:9], 0
                                        ; implicit-def: $sgpr35
.LBB3_78:                               ;   in Loop: Header=BB3_54 Depth=2
	s_and_b64 vcc, exec, s[44:45]
	s_cbranch_vccz .LBB3_99
.LBB3_79:                               ;   in Loop: Header=BB3_54 Depth=2
	s_add_u32 s42, s14, s42
	s_addc_u32 s43, s15, s43
	global_load_dword v5, v1, s[42:43]
	s_ashr_i32 s41, s40, 31
	s_lshl_b64 s[8:9], s[40:41], 2
	s_add_u32 s40, s54, s8
	s_addc_u32 s41, s55, s9
	global_load_dword v7, v1, s[40:41]
	s_waitcnt vmcnt(1)
	v_mul_f32_e32 v6, 0x4f800000, v5
	v_cmp_gt_f32_e32 vcc, s68, v5
	v_cndmask_b32_e32 v5, v5, v6, vcc
	v_sqrt_f32_e32 v6, v5
	s_waitcnt vmcnt(0)
	v_sub_f32_e32 v8, v4, v7
	v_add_u32_e32 v9, -1, v6
	v_add_u32_e32 v10, 1, v6
	v_fma_f32 v11, -v9, v6, v5
	v_fma_f32 v12, -v10, v6, v5
	v_cmp_ge_f32_e64 s[8:9], 0, v11
	v_cndmask_b32_e64 v6, v6, v9, s[8:9]
	v_cmp_lt_f32_e64 s[8:9], 0, v12
	v_cndmask_b32_e64 v6, v6, v10, s[8:9]
	v_mul_f32_e32 v9, 0x37800000, v6
	v_cndmask_b32_e32 v6, v6, v9, vcc
	v_cmp_class_f32_e32 vcc, v5, v2
	v_cndmask_b32_e32 v5, v6, v5, vcc
	v_add_f32_e32 v9, v5, v5
	v_cmp_ngt_f32_e64 s[8:9], |v8|, |v9|
	v_and_b32_e32 v10, 0x7fffffff, v9
	s_and_b64 vcc, exec, s[8:9]
	s_cbranch_vccz .LBB3_82
; %bb.80:                               ;   in Loop: Header=BB3_54 Depth=2
	v_cmp_nlt_f32_e64 s[8:9], |v8|, |v9|
	s_and_b64 vcc, exec, s[8:9]
	s_cbranch_vccz .LBB3_83
; %bb.81:                               ;   in Loop: Header=BB3_54 Depth=2
	v_cvt_f64_f32_e32 v[11:12], v10
	v_mul_f64 v[11:12], v[11:12], s[16:17]
	v_cvt_f32_f64_e32 v6, v[11:12]
	s_cbranch_execz .LBB3_84
	s_branch .LBB3_85
.LBB3_82:                               ;   in Loop: Header=BB3_54 Depth=2
                                        ; implicit-def: $vgpr6
	s_branch .LBB3_86
.LBB3_83:                               ;   in Loop: Header=BB3_54 Depth=2
                                        ; implicit-def: $vgpr6
.LBB3_84:                               ;   in Loop: Header=BB3_54 Depth=2
	v_and_b32_e32 v6, 0x7fffffff, v8
	v_div_scale_f32 v11, s[8:9], v10, v10, v6
	v_div_scale_f32 v6, vcc, v6, v10, v6
	v_rcp_f32_e32 v12, v11
	v_fma_f32 v13, -v11, v12, 1.0
	v_fmac_f32_e32 v12, v13, v12
	v_mul_f32_e32 v13, v6, v12
	v_fma_f32 v14, -v11, v13, v6
	v_fmac_f32_e32 v13, v14, v12
	v_fma_f32 v6, -v11, v13, v6
	v_div_fmas_f32 v6, v6, v12, v13
	v_div_fixup_f32 v6, v6, |v9|, |v8|
	v_fma_f32 v6, v6, v6, 1.0
	v_mul_f32_e32 v11, 0x4f800000, v6
	v_cmp_gt_f32_e32 vcc, s68, v6
	v_cndmask_b32_e32 v6, v6, v11, vcc
	v_sqrt_f32_e32 v11, v6
	v_add_u32_e32 v12, -1, v11
	v_add_u32_e32 v13, 1, v11
	v_fma_f32 v14, -v12, v11, v6
	v_fma_f32 v15, -v13, v11, v6
	v_cmp_ge_f32_e64 s[8:9], 0, v14
	v_cndmask_b32_e64 v11, v11, v12, s[8:9]
	v_cmp_lt_f32_e64 s[8:9], 0, v15
	v_cndmask_b32_e64 v11, v11, v13, s[8:9]
	v_mul_f32_e32 v12, 0x37800000, v11
	v_cndmask_b32_e32 v11, v11, v12, vcc
	v_cmp_class_f32_e32 vcc, v6, v2
	v_cndmask_b32_e32 v6, v11, v6, vcc
	v_mul_f32_e64 v6, |v9|, v6
.LBB3_85:                               ;   in Loop: Header=BB3_54 Depth=2
	s_cbranch_execnz .LBB3_87
.LBB3_86:                               ;   in Loop: Header=BB3_54 Depth=2
	v_and_b32_e32 v6, 0x7fffffff, v8
	v_div_scale_f32 v11, s[8:9], v6, v6, v10
	v_div_scale_f32 v6, vcc, v10, v6, v10
	v_rcp_f32_e32 v10, v11
	v_fma_f32 v12, -v11, v10, 1.0
	v_fmac_f32_e32 v10, v12, v10
	v_mul_f32_e32 v12, v6, v10
	v_fma_f32 v13, -v11, v12, v6
	v_fmac_f32_e32 v12, v13, v10
	v_fma_f32 v6, -v11, v12, v6
	v_div_fmas_f32 v6, v6, v10, v12
	v_div_fixup_f32 v6, v6, |v8|, |v9|
	v_fma_f32 v6, v6, v6, 1.0
	v_mul_f32_e32 v9, 0x4f800000, v6
	v_cmp_gt_f32_e32 vcc, s68, v6
	v_cndmask_b32_e32 v6, v6, v9, vcc
	v_sqrt_f32_e32 v9, v6
	v_add_u32_e32 v10, -1, v9
	v_add_u32_e32 v11, 1, v9
	v_fma_f32 v12, -v10, v9, v6
	v_fma_f32 v13, -v11, v9, v6
	v_cmp_ge_f32_e64 s[8:9], 0, v12
	v_cndmask_b32_e64 v9, v9, v10, s[8:9]
	v_cmp_lt_f32_e64 s[8:9], 0, v13
	v_cndmask_b32_e64 v9, v9, v11, s[8:9]
	v_mul_f32_e32 v10, 0x37800000, v9
	v_cndmask_b32_e32 v9, v9, v10, vcc
	v_cmp_class_f32_e32 vcc, v6, v2
	v_cndmask_b32_e32 v6, v9, v6, vcc
	v_mul_f32_e64 v6, |v8|, v6
.LBB3_87:                               ;   in Loop: Header=BB3_54 Depth=2
	v_add_f32_e32 v9, v4, v7
	v_cmp_gt_f32_e64 vcc, |v4|, |v7|
	v_cndmask_b32_e32 v8, v4, v7, vcc
	v_cndmask_b32_e32 v7, v7, v4, vcc
	v_cmp_ngt_f32_e32 vcc, 0, v9
	s_cbranch_vccz .LBB3_90
; %bb.88:                               ;   in Loop: Header=BB3_54 Depth=2
	v_cmp_nlt_f32_e32 vcc, 0, v9
	s_cbranch_vccz .LBB3_91
; %bb.89:                               ;   in Loop: Header=BB3_54 Depth=2
	v_mul_f32_e32 v4, 0.5, v6
	v_mul_f32_e32 v10, -0.5, v6
	s_cbranch_execz .LBB3_92
	s_branch .LBB3_93
.LBB3_90:                               ;   in Loop: Header=BB3_54 Depth=2
                                        ; implicit-def: $vgpr10
                                        ; implicit-def: $vgpr4
	s_branch .LBB3_94
.LBB3_91:                               ;   in Loop: Header=BB3_54 Depth=2
                                        ; implicit-def: $vgpr10
                                        ; implicit-def: $vgpr4
.LBB3_92:                               ;   in Loop: Header=BB3_54 Depth=2
	v_add_f32_e32 v4, v9, v6
	v_mul_f32_e32 v4, 0.5, v4
	v_cvt_f64_f32_e32 v[10:11], v7
	v_cvt_f64_f32_e32 v[12:13], v4
	v_div_scale_f64 v[14:15], s[8:9], v[12:13], v[12:13], v[10:11]
	v_rcp_f64_e32 v[16:17], v[14:15]
	v_fma_f64 v[18:19], -v[14:15], v[16:17], 1.0
	v_fma_f64 v[16:17], v[16:17], v[18:19], v[16:17]
	v_fma_f64 v[18:19], -v[14:15], v[16:17], 1.0
	v_fma_f64 v[16:17], v[16:17], v[18:19], v[16:17]
	v_div_scale_f64 v[18:19], vcc, v[10:11], v[12:13], v[10:11]
	v_mul_f64 v[20:21], v[18:19], v[16:17]
	v_fma_f64 v[14:15], -v[14:15], v[20:21], v[18:19]
	s_nop 1
	v_div_fmas_f64 v[14:15], v[14:15], v[16:17], v[20:21]
	v_cvt_f64_f32_e32 v[16:17], v5
	v_div_scale_f64 v[18:19], s[8:9], v[12:13], v[12:13], v[16:17]
	v_div_fixup_f64 v[10:11], v[14:15], v[12:13], v[10:11]
	v_cvt_f64_f32_e32 v[14:15], v8
	v_rcp_f64_e32 v[20:21], v[18:19]
	v_fma_f64 v[22:23], -v[18:19], v[20:21], 1.0
	v_fma_f64 v[20:21], v[20:21], v[22:23], v[20:21]
	v_fma_f64 v[22:23], -v[18:19], v[20:21], 1.0
	v_fma_f64 v[20:21], v[20:21], v[22:23], v[20:21]
	v_div_scale_f64 v[22:23], vcc, v[16:17], v[12:13], v[16:17]
	v_mul_f64 v[24:25], v[22:23], v[20:21]
	v_fma_f64 v[18:19], -v[18:19], v[24:25], v[22:23]
	s_nop 1
	v_div_fmas_f64 v[18:19], v[18:19], v[20:21], v[24:25]
	v_div_fixup_f64 v[12:13], v[18:19], v[12:13], v[16:17]
	v_mul_f64 v[12:13], v[12:13], v[16:17]
	v_fma_f64 v[10:11], v[10:11], v[14:15], -v[12:13]
	v_cvt_f32_f64_e32 v10, v[10:11]
.LBB3_93:                               ;   in Loop: Header=BB3_54 Depth=2
	s_cbranch_execnz .LBB3_95
.LBB3_94:                               ;   in Loop: Header=BB3_54 Depth=2
	v_sub_f32_e32 v4, v9, v6
	v_mul_f32_e32 v4, 0.5, v4
	v_cvt_f64_f32_e32 v[6:7], v7
	v_cvt_f64_f32_e32 v[9:10], v4
	v_div_scale_f64 v[11:12], s[8:9], v[9:10], v[9:10], v[6:7]
	v_rcp_f64_e32 v[13:14], v[11:12]
	v_fma_f64 v[15:16], -v[11:12], v[13:14], 1.0
	v_fma_f64 v[13:14], v[13:14], v[15:16], v[13:14]
	v_fma_f64 v[15:16], -v[11:12], v[13:14], 1.0
	v_fma_f64 v[13:14], v[13:14], v[15:16], v[13:14]
	v_div_scale_f64 v[15:16], vcc, v[6:7], v[9:10], v[6:7]
	v_mul_f64 v[17:18], v[15:16], v[13:14]
	v_fma_f64 v[11:12], -v[11:12], v[17:18], v[15:16]
	s_nop 1
	v_div_fmas_f64 v[11:12], v[11:12], v[13:14], v[17:18]
	v_cvt_f64_f32_e32 v[13:14], v5
	v_div_scale_f64 v[15:16], s[8:9], v[9:10], v[9:10], v[13:14]
	v_div_fixup_f64 v[6:7], v[11:12], v[9:10], v[6:7]
	v_cvt_f64_f32_e32 v[11:12], v8
	v_rcp_f64_e32 v[17:18], v[15:16]
	v_fma_f64 v[19:20], -v[15:16], v[17:18], 1.0
	v_fma_f64 v[17:18], v[17:18], v[19:20], v[17:18]
	v_fma_f64 v[19:20], -v[15:16], v[17:18], 1.0
	v_fma_f64 v[17:18], v[17:18], v[19:20], v[17:18]
	v_div_scale_f64 v[19:20], vcc, v[13:14], v[9:10], v[13:14]
	v_mul_f64 v[21:22], v[19:20], v[17:18]
	v_fma_f64 v[15:16], -v[15:16], v[21:22], v[19:20]
	s_nop 1
	v_div_fmas_f64 v[15:16], v[15:16], v[17:18], v[21:22]
	v_div_fixup_f64 v[8:9], v[15:16], v[9:10], v[13:14]
	v_mul_f64 v[8:9], v[8:9], v[13:14]
	v_fma_f64 v[5:6], v[6:7], v[11:12], -v[8:9]
	v_cvt_f32_f64_e32 v10, v[5:6]
.LBB3_95:                               ;   in Loop: Header=BB3_54 Depth=2
	global_store_dword v1, v4, s[38:39]
	global_store_dword v1, v10, s[40:41]
	;; [unrolled: 1-line block ×3, first 2 shown]
	s_add_i32 s34, s34, 2
	s_cbranch_execz .LBB3_53
	s_branch .LBB3_100
.LBB3_96:                               ;   in Loop: Header=BB3_54 Depth=2
	v_mov_b32_e32 v9, v10
.LBB3_97:                               ;   in Loop: Header=BB3_54 Depth=2
	v_mov_b32_e32 v8, v6
.LBB3_98:                               ;   in Loop: Header=BB3_54 Depth=2
	v_mul_f32_e32 v6, v7, v8
	v_add_f32_e32 v5, v5, v9
	s_add_i32 s35, s31, 1
	global_store_dword v1, v6, s[46:47]
	global_store_dword v1, v5, s[38:39]
	s_mov_b64 s[8:9], -1
	s_and_b64 vcc, exec, s[44:45]
	s_cbranch_vccnz .LBB3_79
.LBB3_99:                               ;   in Loop: Header=BB3_54 Depth=2
	s_mov_b32 s31, s35
	s_and_b64 vcc, exec, s[8:9]
	s_cbranch_vccz .LBB3_53
.LBB3_100:                              ;   in Loop: Header=BB3_54 Depth=2
	s_cmp_gt_i32 s34, s25
	s_cselect_b64 s[8:9], -1, 0
	s_cmp_ge_i32 s31, s20
	s_cselect_b64 s[36:37], -1, 0
	s_or_b64 s[36:37], s[8:9], s[36:37]
	s_branch .LBB3_53
.LBB3_101:                              ;   in Loop: Header=BB3_102 Depth=2
	s_andn2_b64 vcc, exec, s[8:9]
	s_cbranch_vccz .LBB3_43
.LBB3_102:                              ;   Parent Loop BB3_3 Depth=1
                                        ; =>  This Loop Header: Depth=2
                                        ;       Child Loop BB3_104 Depth 3
                                        ;       Child Loop BB3_117 Depth 3
	s_ashr_i32 s31, s30, 31
	s_min_i32 s36, s25, s30
	s_lshl_b64 s[2:3], s[30:31], 2
	s_add_u32 s34, s61, s2
	s_addc_u32 s35, s62, s3
	s_add_u32 s8, s65, s2
	s_addc_u32 s9, s66, s3
	s_mov_b32 s31, s30
	s_mov_b64 s[38:39], -1
	s_cmp_le_i32 s31, s25
	s_mov_b64 s[40:41], -1
                                        ; implicit-def: $sgpr37
	s_cbranch_scc1 .LBB3_104
.LBB3_103:                              ;   in Loop: Header=BB3_102 Depth=2
	global_load_dwordx2 v[4:5], v1, s[34:35] offset:-4
	global_load_dword v6, v1, s[8:9] offset:-8
	s_add_i32 s37, s31, -1
	s_add_u32 s34, s34, -4
	s_addc_u32 s35, s35, -1
	s_add_u32 s8, s8, -4
	s_mov_b64 s[38:39], 0
	s_addc_u32 s9, s9, -1
	s_waitcnt vmcnt(1)
	v_mul_f32_e32 v4, v5, v4
	v_mul_f32_e64 v4, v0, |v4|
	s_waitcnt vmcnt(0)
	v_cmp_le_f32_e64 s[40:41], |v6|, v4
.LBB3_104:                              ;   Parent Loop BB3_3 Depth=1
                                        ;     Parent Loop BB3_102 Depth=2
                                        ; =>    This Inner Loop Header: Depth=3
	s_andn2_b64 vcc, exec, s[40:41]
	s_cbranch_vccz .LBB3_106
; %bb.105:                              ;   in Loop: Header=BB3_104 Depth=3
	s_mov_b32 s31, s37
	s_mov_b64 s[38:39], -1
	s_cmp_le_i32 s31, s25
	s_mov_b64 s[40:41], -1
                                        ; implicit-def: $sgpr37
	s_cbranch_scc0 .LBB3_103
	s_branch .LBB3_104
.LBB3_106:                              ;   in Loop: Header=BB3_102 Depth=2
	s_andn2_b64 vcc, exec, s[38:39]
	s_cbranch_vccz .LBB3_108
; %bb.107:                              ;   in Loop: Header=BB3_102 Depth=2
	s_mov_b32 s36, s31
	global_store_dword v1, v1, s[8:9] offset:-4
.LBB3_108:                              ;   in Loop: Header=BB3_102 Depth=2
	s_add_i32 s31, s30, -1
	s_cmp_eq_u32 s36, s30
	s_mov_b64 s[8:9], -1
	s_cbranch_scc1 .LBB3_123
; %bb.109:                              ;   in Loop: Header=BB3_102 Depth=2
	s_add_u32 s34, s54, s2
	s_addc_u32 s35, s55, s3
	global_load_dword v4, v1, s[34:35]
	s_cmp_lg_u32 s36, s31
	s_cbranch_scc0 .LBB3_124
; %bb.110:                              ;   in Loop: Header=BB3_102 Depth=2
	s_mov_b64 s[38:39], 0
	s_cmp_lg_u32 s70, s20
	s_mov_b32 s31, s20
	s_mov_b64 s[40:41], 0
	s_cbranch_scc0 .LBB3_125
; %bb.111:                              ;   in Loop: Header=BB3_102 Depth=2
	s_add_u32 s40, s14, s2
	s_addc_u32 s41, s15, s3
	global_load_dword v5, v1, s[40:41] offset:-4
	s_ashr_i32 s37, s36, 31
	s_lshl_b64 s[44:45], s[36:37], 2
	s_add_u32 s42, s54, s44
	s_addc_u32 s43, s55, s45
	global_load_dword v6, v1, s[42:43]
	global_load_dword v7, v1, s[34:35] offset:-4
	s_cmp_ge_i32 s36, s30
	s_waitcnt vmcnt(2)
	v_mul_f32_e32 v8, 0x4f800000, v5
	v_cmp_gt_f32_e32 vcc, s68, v5
	v_cndmask_b32_e32 v5, v5, v8, vcc
	v_sqrt_f32_e32 v8, v5
	s_waitcnt vmcnt(0)
	v_sub_f32_e32 v7, v7, v4
	v_add_u32_e32 v9, -1, v8
	v_add_u32_e32 v10, 1, v8
	v_fma_f32 v11, -v9, v8, v5
	v_fma_f32 v12, -v10, v8, v5
	v_cmp_ge_f32_e64 s[2:3], 0, v11
	v_cndmask_b32_e64 v8, v8, v9, s[2:3]
	v_cmp_lt_f32_e64 s[2:3], 0, v12
	v_cndmask_b32_e64 v8, v8, v10, s[2:3]
	v_mul_f32_e32 v9, 0x37800000, v8
	v_cndmask_b32_e32 v8, v8, v9, vcc
	v_cmp_class_f32_e32 vcc, v5, v2
	v_cndmask_b32_e32 v5, v8, v5, vcc
	v_add_f32_e32 v8, v5, v5
	v_div_scale_f32 v9, s[2:3], v8, v8, v7
	v_div_scale_f32 v10, vcc, v7, v8, v7
	v_rcp_f32_e32 v11, v9
	v_fma_f32 v12, -v9, v11, 1.0
	v_fmac_f32_e32 v11, v12, v11
	v_mul_f32_e32 v12, v10, v11
	v_fma_f32 v13, -v9, v12, v10
	v_fmac_f32_e32 v12, v13, v11
	v_fma_f32 v9, -v9, v12, v10
	v_div_fmas_f32 v9, v9, v11, v12
	v_div_fixup_f32 v7, v9, v8, v7
	v_fma_f32 v8, v7, v7, 1.0
	v_mul_f32_e32 v9, 0x4f800000, v8
	v_cmp_gt_f32_e32 vcc, s68, v8
	v_cndmask_b32_e32 v8, v8, v9, vcc
	v_sqrt_f32_e32 v9, v8
	v_add_u32_e32 v10, -1, v9
	v_add_u32_e32 v11, 1, v9
	v_fma_f32 v12, -v10, v9, v8
	v_fma_f32 v13, -v11, v9, v8
	v_cmp_ge_f32_e64 s[2:3], 0, v12
	v_cndmask_b32_e64 v9, v9, v10, s[2:3]
	v_cmp_lt_f32_e64 s[2:3], 0, v13
	v_cndmask_b32_e64 v9, v9, v11, s[2:3]
	v_mul_f32_e32 v10, 0x37800000, v9
	v_cndmask_b32_e32 v9, v9, v10, vcc
	v_cmp_class_f32_e32 vcc, v8, v2
	v_cndmask_b32_e32 v8, v9, v8, vcc
	v_cmp_nle_f32_e32 vcc, 0, v7
	v_cndmask_b32_e64 v8, |v8|, -|v8|, vcc
	v_add_f32_e32 v7, v7, v8
	v_div_scale_f32 v8, s[2:3], v7, v7, v5
	v_div_scale_f32 v9, vcc, v5, v7, v5
	v_rcp_f32_e32 v10, v8
	v_fma_f32 v11, -v8, v10, 1.0
	v_fmac_f32_e32 v10, v11, v10
	v_mul_f32_e32 v11, v9, v10
	v_fma_f32 v12, -v8, v11, v9
	v_fmac_f32_e32 v11, v12, v10
	v_fma_f32 v8, -v8, v11, v9
	v_div_fmas_f32 v8, v8, v10, v11
	v_div_fixup_f32 v5, v8, v7, v5
	v_sub_f32_e32 v5, v4, v5
	v_sub_f32_e32 v8, v6, v5
	v_mul_f32_e32 v9, v8, v8
	v_mov_b32_e32 v7, 0
	s_cbranch_scc1 .LBB3_145
; %bb.112:                              ;   in Loop: Header=BB3_102 Depth=2
	s_add_u32 s2, s14, s44
	s_addc_u32 s3, s15, s45
	global_load_dword v6, v1, s[2:3]
	global_load_dword v11, v1, s[42:43] offset:4
	s_waitcnt vmcnt(1)
	v_add_f32_e32 v7, v9, v6
	v_div_scale_f32 v10, s[2:3], v7, v7, v9
	v_div_scale_f32 v12, s[2:3], v7, v7, v6
	v_div_scale_f32 v13, vcc, v9, v7, v9
	v_div_scale_f32 v14, s[2:3], v6, v7, v6
	v_rcp_f32_e32 v15, v10
	v_rcp_f32_e32 v16, v12
	v_fma_f32 v17, -v10, v15, 1.0
	v_fmac_f32_e32 v15, v17, v15
	v_fma_f32 v18, -v12, v16, 1.0
	v_fmac_f32_e32 v16, v18, v16
	v_mul_f32_e32 v17, v13, v15
	v_mul_f32_e32 v18, v14, v16
	v_fma_f32 v19, -v10, v17, v13
	v_fma_f32 v20, -v12, v18, v14
	v_fmac_f32_e32 v17, v19, v15
	v_fmac_f32_e32 v18, v20, v16
	v_fma_f32 v10, -v10, v17, v13
	v_fma_f32 v12, -v12, v18, v14
	v_div_fmas_f32 v10, v10, v15, v17
	s_mov_b64 vcc, s[2:3]
	v_div_fmas_f32 v12, v12, v16, v18
	s_waitcnt vmcnt(0)
	v_sub_f32_e32 v13, v11, v5
	v_div_fixup_f32 v9, v10, v7, v9
	v_cmp_eq_f32_e32 vcc, 0, v9
	v_div_fixup_f32 v7, v12, v7, v6
	v_mul_f32_e32 v10, v8, v7
	v_fma_f32 v10, v9, v13, -v10
	v_sub_f32_e32 v11, v11, v10
	v_add_f32_e32 v8, v8, v11
	global_store_dword v1, v8, s[42:43]
	s_cbranch_vccnz .LBB3_114
; %bb.113:                              ;   in Loop: Header=BB3_102 Depth=2
	v_mul_f32_e32 v6, v10, v10
	v_div_scale_f32 v8, s[2:3], v9, v9, v6
	v_div_scale_f32 v11, vcc, v6, v9, v6
	v_rcp_f32_e32 v12, v8
	v_fma_f32 v13, -v8, v12, 1.0
	v_fmac_f32_e32 v12, v13, v12
	v_mul_f32_e32 v13, v11, v12
	v_fma_f32 v14, -v8, v13, v11
	v_fmac_f32_e32 v13, v14, v12
	v_fma_f32 v8, -v8, v13, v11
	v_div_fmas_f32 v8, v8, v12, v13
	v_div_fixup_f32 v6, v8, v9, v6
.LBB3_114:                              ;   in Loop: Header=BB3_102 Depth=2
	s_add_i32 s2, s36, 1
	s_cmp_ge_i32 s2, s30
	s_cbranch_scc1 .LBB3_143
; %bb.115:                              ;   in Loop: Header=BB3_102 Depth=2
	s_ashr_i32 s3, s2, 31
	s_lshl_b64 s[2:3], s[2:3], 2
	s_add_u32 s42, s57, s2
	s_addc_u32 s43, s58, s3
	s_add_u32 s44, s63, s2
	s_addc_u32 s45, s64, s3
	s_mov_b32 s31, 1
	global_load_dword v11, v1, s[42:43]
	s_cmp_eq_u32 s31, 0
	s_waitcnt vmcnt(0)
	v_add_f32_e32 v8, v6, v11
	s_cbranch_scc1 .LBB3_117
.LBB3_116:                              ;   in Loop: Header=BB3_102 Depth=2
	v_mul_f32_e32 v7, v7, v8
	global_store_dword v1, v7, s[42:43] offset:-4
.LBB3_117:                              ;   Parent Loop BB3_3 Depth=1
                                        ;     Parent Loop BB3_102 Depth=2
                                        ; =>    This Inner Loop Header: Depth=3
	global_load_dword v13, v1, s[44:45]
	v_div_scale_f32 v7, s[2:3], v8, v8, v6
	v_div_scale_f32 v12, s[2:3], v8, v8, v11
	v_div_scale_f32 v14, vcc, v6, v8, v6
	v_div_scale_f32 v15, s[2:3], v11, v8, v11
	v_rcp_f32_e32 v16, v7
	v_rcp_f32_e32 v17, v12
	v_fma_f32 v18, -v7, v16, 1.0
	v_fmac_f32_e32 v16, v18, v16
	v_fma_f32 v19, -v12, v17, 1.0
	v_fmac_f32_e32 v17, v19, v17
	v_mul_f32_e32 v18, v14, v16
	v_mul_f32_e32 v19, v15, v17
	v_fma_f32 v20, -v7, v18, v14
	v_fma_f32 v21, -v12, v19, v15
	v_fmac_f32_e32 v18, v20, v16
	v_fmac_f32_e32 v19, v21, v17
	v_fma_f32 v7, -v7, v18, v14
	v_fma_f32 v12, -v12, v19, v15
	v_div_fmas_f32 v7, v7, v16, v18
	s_mov_b64 vcc, s[2:3]
	v_div_fmas_f32 v14, v12, v17, v19
	v_div_fixup_f32 v12, v7, v8, v6
	v_cmp_eq_f32_e32 vcc, 0, v12
	v_div_fixup_f32 v7, v14, v8, v11
	v_mul_f32_e32 v6, v10, v7
	s_and_b64 vcc, exec, vcc
	s_waitcnt vmcnt(0)
	v_sub_f32_e32 v8, v13, v5
	v_fma_f32 v8, v12, v8, -v6
	v_sub_f32_e32 v6, v13, v8
	v_add_f32_e32 v6, v10, v6
	global_store_dword v1, v6, s[44:45] offset:-4
	s_cbranch_vccz .LBB3_122
; %bb.118:                              ;   in Loop: Header=BB3_117 Depth=3
	v_mul_f32_e32 v6, v9, v11
	s_cbranch_execnz .LBB3_120
.LBB3_119:                              ;   in Loop: Header=BB3_117 Depth=3
	v_mul_f32_e32 v6, v8, v8
	v_div_scale_f32 v9, s[2:3], v12, v12, v6
	v_div_scale_f32 v10, vcc, v6, v12, v6
	v_rcp_f32_e32 v11, v9
	v_fma_f32 v13, -v9, v11, 1.0
	v_fmac_f32_e32 v11, v13, v11
	v_mul_f32_e32 v13, v10, v11
	v_fma_f32 v14, -v9, v13, v10
	v_fmac_f32_e32 v13, v14, v11
	v_fma_f32 v9, -v9, v13, v10
	v_div_fmas_f32 v9, v9, v11, v13
	v_div_fixup_f32 v6, v9, v12, v6
.LBB3_120:                              ;   in Loop: Header=BB3_117 Depth=3
	s_add_i32 s31, s31, 1
	s_add_i32 s2, s36, s31
	s_add_u32 s42, s42, 4
	s_addc_u32 s43, s43, 0
	s_add_u32 s44, s44, 4
	s_addc_u32 s45, s45, 0
	s_cmp_ge_i32 s2, s30
	s_cbranch_scc1 .LBB3_144
; %bb.121:                              ;   in Loop: Header=BB3_117 Depth=3
	v_mov_b32_e32 v9, v12
	v_mov_b32_e32 v10, v8
	global_load_dword v11, v1, s[42:43]
	s_cmp_eq_u32 s31, 0
	s_waitcnt vmcnt(0)
	v_add_f32_e32 v8, v6, v11
	s_cbranch_scc0 .LBB3_116
	s_branch .LBB3_117
.LBB3_122:                              ;   in Loop: Header=BB3_117 Depth=3
                                        ; implicit-def: $vgpr6
	s_branch .LBB3_119
.LBB3_123:                              ;   in Loop: Header=BB3_102 Depth=2
	s_mov_b32 s30, s31
	s_cbranch_execz .LBB3_101
	s_branch .LBB3_147
.LBB3_124:                              ;   in Loop: Header=BB3_102 Depth=2
	s_mov_b64 s[38:39], -1
	s_mov_b64 s[40:41], 0
                                        ; implicit-def: $sgpr31
.LBB3_125:                              ;   in Loop: Header=BB3_102 Depth=2
	s_and_b64 vcc, exec, s[38:39]
	s_cbranch_vccz .LBB3_146
.LBB3_126:                              ;   in Loop: Header=BB3_102 Depth=2
	s_ashr_i32 s37, s36, 31
	s_lshl_b64 s[2:3], s[36:37], 2
	s_add_u32 s36, s14, s2
	s_addc_u32 s37, s15, s3
	global_load_dword v5, v1, s[36:37]
	s_add_u32 s38, s54, s2
	s_addc_u32 s39, s55, s3
	global_load_dword v7, v1, s[38:39]
	s_waitcnt vmcnt(1)
	v_mul_f32_e32 v6, 0x4f800000, v5
	v_cmp_gt_f32_e32 vcc, s68, v5
	v_cndmask_b32_e32 v5, v5, v6, vcc
	v_sqrt_f32_e32 v6, v5
	s_waitcnt vmcnt(0)
	v_sub_f32_e32 v8, v4, v7
	v_add_u32_e32 v9, -1, v6
	v_add_u32_e32 v10, 1, v6
	v_fma_f32 v11, -v9, v6, v5
	v_fma_f32 v12, -v10, v6, v5
	v_cmp_ge_f32_e64 s[2:3], 0, v11
	v_cndmask_b32_e64 v6, v6, v9, s[2:3]
	v_cmp_lt_f32_e64 s[2:3], 0, v12
	v_cndmask_b32_e64 v6, v6, v10, s[2:3]
	v_mul_f32_e32 v9, 0x37800000, v6
	v_cndmask_b32_e32 v6, v6, v9, vcc
	v_cmp_class_f32_e32 vcc, v5, v2
	v_cndmask_b32_e32 v5, v6, v5, vcc
	v_add_f32_e32 v9, v5, v5
	v_cmp_ngt_f32_e64 s[2:3], |v8|, |v9|
	v_and_b32_e32 v10, 0x7fffffff, v9
	s_and_b64 vcc, exec, s[2:3]
	s_cbranch_vccz .LBB3_129
; %bb.127:                              ;   in Loop: Header=BB3_102 Depth=2
	v_cmp_nlt_f32_e64 s[2:3], |v8|, |v9|
	s_and_b64 vcc, exec, s[2:3]
	s_cbranch_vccz .LBB3_130
; %bb.128:                              ;   in Loop: Header=BB3_102 Depth=2
	v_cvt_f64_f32_e32 v[11:12], v10
	v_mul_f64 v[11:12], v[11:12], s[16:17]
	v_cvt_f32_f64_e32 v6, v[11:12]
	s_cbranch_execz .LBB3_131
	s_branch .LBB3_132
.LBB3_129:                              ;   in Loop: Header=BB3_102 Depth=2
                                        ; implicit-def: $vgpr6
	s_branch .LBB3_133
.LBB3_130:                              ;   in Loop: Header=BB3_102 Depth=2
                                        ; implicit-def: $vgpr6
.LBB3_131:                              ;   in Loop: Header=BB3_102 Depth=2
	v_and_b32_e32 v6, 0x7fffffff, v8
	v_div_scale_f32 v11, s[2:3], v10, v10, v6
	v_div_scale_f32 v6, vcc, v6, v10, v6
	v_rcp_f32_e32 v12, v11
	v_fma_f32 v13, -v11, v12, 1.0
	v_fmac_f32_e32 v12, v13, v12
	v_mul_f32_e32 v13, v6, v12
	v_fma_f32 v14, -v11, v13, v6
	v_fmac_f32_e32 v13, v14, v12
	v_fma_f32 v6, -v11, v13, v6
	v_div_fmas_f32 v6, v6, v12, v13
	v_div_fixup_f32 v6, v6, |v9|, |v8|
	v_fma_f32 v6, v6, v6, 1.0
	v_mul_f32_e32 v11, 0x4f800000, v6
	v_cmp_gt_f32_e32 vcc, s68, v6
	v_cndmask_b32_e32 v6, v6, v11, vcc
	v_sqrt_f32_e32 v11, v6
	v_add_u32_e32 v12, -1, v11
	v_add_u32_e32 v13, 1, v11
	v_fma_f32 v14, -v12, v11, v6
	v_fma_f32 v15, -v13, v11, v6
	v_cmp_ge_f32_e64 s[2:3], 0, v14
	v_cndmask_b32_e64 v11, v11, v12, s[2:3]
	v_cmp_lt_f32_e64 s[2:3], 0, v15
	v_cndmask_b32_e64 v11, v11, v13, s[2:3]
	v_mul_f32_e32 v12, 0x37800000, v11
	v_cndmask_b32_e32 v11, v11, v12, vcc
	v_cmp_class_f32_e32 vcc, v6, v2
	v_cndmask_b32_e32 v6, v11, v6, vcc
	v_mul_f32_e64 v6, |v9|, v6
.LBB3_132:                              ;   in Loop: Header=BB3_102 Depth=2
	s_cbranch_execnz .LBB3_134
.LBB3_133:                              ;   in Loop: Header=BB3_102 Depth=2
	v_and_b32_e32 v6, 0x7fffffff, v8
	v_div_scale_f32 v11, s[2:3], v6, v6, v10
	v_div_scale_f32 v6, vcc, v10, v6, v10
	v_rcp_f32_e32 v10, v11
	v_fma_f32 v12, -v11, v10, 1.0
	v_fmac_f32_e32 v10, v12, v10
	v_mul_f32_e32 v12, v6, v10
	v_fma_f32 v13, -v11, v12, v6
	v_fmac_f32_e32 v12, v13, v10
	v_fma_f32 v6, -v11, v12, v6
	v_div_fmas_f32 v6, v6, v10, v12
	v_div_fixup_f32 v6, v6, |v8|, |v9|
	v_fma_f32 v6, v6, v6, 1.0
	v_mul_f32_e32 v9, 0x4f800000, v6
	v_cmp_gt_f32_e32 vcc, s68, v6
	v_cndmask_b32_e32 v6, v6, v9, vcc
	v_sqrt_f32_e32 v9, v6
	v_add_u32_e32 v10, -1, v9
	v_add_u32_e32 v11, 1, v9
	v_fma_f32 v12, -v10, v9, v6
	v_fma_f32 v13, -v11, v9, v6
	v_cmp_ge_f32_e64 s[2:3], 0, v12
	v_cndmask_b32_e64 v9, v9, v10, s[2:3]
	v_cmp_lt_f32_e64 s[2:3], 0, v13
	v_cndmask_b32_e64 v9, v9, v11, s[2:3]
	v_mul_f32_e32 v10, 0x37800000, v9
	v_cndmask_b32_e32 v9, v9, v10, vcc
	v_cmp_class_f32_e32 vcc, v6, v2
	v_cndmask_b32_e32 v6, v9, v6, vcc
	v_mul_f32_e64 v6, |v8|, v6
.LBB3_134:                              ;   in Loop: Header=BB3_102 Depth=2
	v_add_f32_e32 v9, v4, v7
	v_cmp_gt_f32_e64 vcc, |v4|, |v7|
	v_cndmask_b32_e32 v8, v4, v7, vcc
	v_cndmask_b32_e32 v7, v7, v4, vcc
	v_cmp_ngt_f32_e32 vcc, 0, v9
	s_cbranch_vccz .LBB3_137
; %bb.135:                              ;   in Loop: Header=BB3_102 Depth=2
	v_cmp_nlt_f32_e32 vcc, 0, v9
	s_cbranch_vccz .LBB3_138
; %bb.136:                              ;   in Loop: Header=BB3_102 Depth=2
	v_mul_f32_e32 v4, 0.5, v6
	v_mul_f32_e32 v10, -0.5, v6
	s_cbranch_execz .LBB3_139
	s_branch .LBB3_140
.LBB3_137:                              ;   in Loop: Header=BB3_102 Depth=2
                                        ; implicit-def: $vgpr10
                                        ; implicit-def: $vgpr4
	s_branch .LBB3_141
.LBB3_138:                              ;   in Loop: Header=BB3_102 Depth=2
                                        ; implicit-def: $vgpr10
                                        ; implicit-def: $vgpr4
.LBB3_139:                              ;   in Loop: Header=BB3_102 Depth=2
	v_add_f32_e32 v4, v9, v6
	v_mul_f32_e32 v4, 0.5, v4
	v_cvt_f64_f32_e32 v[10:11], v7
	v_cvt_f64_f32_e32 v[12:13], v4
	v_div_scale_f64 v[14:15], s[2:3], v[12:13], v[12:13], v[10:11]
	v_rcp_f64_e32 v[16:17], v[14:15]
	v_fma_f64 v[18:19], -v[14:15], v[16:17], 1.0
	v_fma_f64 v[16:17], v[16:17], v[18:19], v[16:17]
	v_fma_f64 v[18:19], -v[14:15], v[16:17], 1.0
	v_fma_f64 v[16:17], v[16:17], v[18:19], v[16:17]
	v_div_scale_f64 v[18:19], vcc, v[10:11], v[12:13], v[10:11]
	v_mul_f64 v[20:21], v[18:19], v[16:17]
	v_fma_f64 v[14:15], -v[14:15], v[20:21], v[18:19]
	s_nop 1
	v_div_fmas_f64 v[14:15], v[14:15], v[16:17], v[20:21]
	v_cvt_f64_f32_e32 v[16:17], v5
	v_div_scale_f64 v[18:19], s[2:3], v[12:13], v[12:13], v[16:17]
	v_div_fixup_f64 v[10:11], v[14:15], v[12:13], v[10:11]
	v_cvt_f64_f32_e32 v[14:15], v8
	v_rcp_f64_e32 v[20:21], v[18:19]
	v_fma_f64 v[22:23], -v[18:19], v[20:21], 1.0
	v_fma_f64 v[20:21], v[20:21], v[22:23], v[20:21]
	v_fma_f64 v[22:23], -v[18:19], v[20:21], 1.0
	v_fma_f64 v[20:21], v[20:21], v[22:23], v[20:21]
	v_div_scale_f64 v[22:23], vcc, v[16:17], v[12:13], v[16:17]
	v_mul_f64 v[24:25], v[22:23], v[20:21]
	v_fma_f64 v[18:19], -v[18:19], v[24:25], v[22:23]
	s_nop 1
	v_div_fmas_f64 v[18:19], v[18:19], v[20:21], v[24:25]
	v_div_fixup_f64 v[12:13], v[18:19], v[12:13], v[16:17]
	v_mul_f64 v[12:13], v[12:13], v[16:17]
	v_fma_f64 v[10:11], v[10:11], v[14:15], -v[12:13]
	v_cvt_f32_f64_e32 v10, v[10:11]
.LBB3_140:                              ;   in Loop: Header=BB3_102 Depth=2
	s_cbranch_execnz .LBB3_142
.LBB3_141:                              ;   in Loop: Header=BB3_102 Depth=2
	v_sub_f32_e32 v4, v9, v6
	v_mul_f32_e32 v4, 0.5, v4
	v_cvt_f64_f32_e32 v[6:7], v7
	v_cvt_f64_f32_e32 v[9:10], v4
	v_div_scale_f64 v[11:12], s[2:3], v[9:10], v[9:10], v[6:7]
	v_rcp_f64_e32 v[13:14], v[11:12]
	v_fma_f64 v[15:16], -v[11:12], v[13:14], 1.0
	v_fma_f64 v[13:14], v[13:14], v[15:16], v[13:14]
	v_fma_f64 v[15:16], -v[11:12], v[13:14], 1.0
	v_fma_f64 v[13:14], v[13:14], v[15:16], v[13:14]
	v_div_scale_f64 v[15:16], vcc, v[6:7], v[9:10], v[6:7]
	v_mul_f64 v[17:18], v[15:16], v[13:14]
	v_fma_f64 v[11:12], -v[11:12], v[17:18], v[15:16]
	s_nop 1
	v_div_fmas_f64 v[11:12], v[11:12], v[13:14], v[17:18]
	v_cvt_f64_f32_e32 v[13:14], v5
	v_div_scale_f64 v[15:16], s[2:3], v[9:10], v[9:10], v[13:14]
	v_div_fixup_f64 v[6:7], v[11:12], v[9:10], v[6:7]
	v_cvt_f64_f32_e32 v[11:12], v8
	v_rcp_f64_e32 v[17:18], v[15:16]
	v_fma_f64 v[19:20], -v[15:16], v[17:18], 1.0
	v_fma_f64 v[17:18], v[17:18], v[19:20], v[17:18]
	v_fma_f64 v[19:20], -v[15:16], v[17:18], 1.0
	v_fma_f64 v[17:18], v[17:18], v[19:20], v[17:18]
	v_div_scale_f64 v[19:20], vcc, v[13:14], v[9:10], v[13:14]
	v_mul_f64 v[21:22], v[19:20], v[17:18]
	v_fma_f64 v[15:16], -v[15:16], v[21:22], v[19:20]
	s_nop 1
	v_div_fmas_f64 v[15:16], v[15:16], v[17:18], v[21:22]
	v_div_fixup_f64 v[8:9], v[15:16], v[9:10], v[13:14]
	v_mul_f64 v[8:9], v[8:9], v[13:14]
	v_fma_f64 v[5:6], v[6:7], v[11:12], -v[8:9]
	v_cvt_f32_f64_e32 v10, v[5:6]
.LBB3_142:                              ;   in Loop: Header=BB3_102 Depth=2
	global_store_dword v1, v4, s[34:35]
	global_store_dword v1, v10, s[38:39]
	;; [unrolled: 1-line block ×3, first 2 shown]
	s_add_i32 s30, s30, -2
	s_cbranch_execz .LBB3_101
	s_branch .LBB3_147
.LBB3_143:                              ;   in Loop: Header=BB3_102 Depth=2
	v_mov_b32_e32 v8, v10
.LBB3_144:                              ;   in Loop: Header=BB3_102 Depth=2
	v_mov_b32_e32 v9, v6
.LBB3_145:                              ;   in Loop: Header=BB3_102 Depth=2
	v_mul_f32_e32 v6, v9, v7
	v_add_f32_e32 v5, v5, v8
	s_add_i32 s31, s70, 1
	global_store_dword v1, v6, s[40:41] offset:-4
	global_store_dword v1, v5, s[34:35]
	s_mov_b64 s[40:41], -1
	s_and_b64 vcc, exec, s[38:39]
	s_cbranch_vccnz .LBB3_126
.LBB3_146:                              ;   in Loop: Header=BB3_102 Depth=2
	s_mov_b32 s70, s31
	s_and_b64 vcc, exec, s[40:41]
	s_cbranch_vccz .LBB3_101
.LBB3_147:                              ;   in Loop: Header=BB3_102 Depth=2
	s_cmp_lt_i32 s30, s25
	s_cselect_b64 s[2:3], -1, 0
	s_cmp_ge_i32 s70, s20
	s_cselect_b64 s[8:9], -1, 0
	s_or_b64 s[8:9], s[2:3], s[8:9]
	s_branch .LBB3_101
.LBB3_148:
	s_cmp_lt_i32 s33, 2
	s_cbranch_scc1 .LBB3_159
; %bb.149:
	s_load_dwordx2 s[0:1], s[4:5], 0x28
	s_lshl_b64 s[4:5], s[6:7], 2
	s_mov_b32 s2, 1
	v_mov_b32_e32 v0, 0
	s_waitcnt lgkmcnt(0)
	s_add_u32 s0, s0, s4
	s_addc_u32 s1, s1, s5
	s_branch .LBB3_151
.LBB3_150:                              ;   in Loop: Header=BB3_151 Depth=1
	s_add_i32 s2, s2, 1
	s_add_u32 s14, s14, 4
	s_addc_u32 s15, s15, 0
	s_cmp_lg_u32 s33, s2
	s_cbranch_scc0 .LBB3_153
.LBB3_151:                              ; =>This Inner Loop Header: Depth=1
	global_load_dword v1, v0, s[14:15]
	s_waitcnt vmcnt(0)
	v_cmp_eq_f32_e32 vcc, 0, v1
	s_cbranch_vccnz .LBB3_150
; %bb.152:                              ;   in Loop: Header=BB3_151 Depth=1
	global_load_dword v1, v0, s[0:1]
	s_waitcnt vmcnt(0)
	v_add_u32_e32 v1, 1, v1
	global_store_dword v0, v1, s[0:1]
	s_branch .LBB3_150
.LBB3_153:
	s_add_u32 s0, s12, s10
	s_addc_u32 s1, s13, s11
	s_add_u32 s0, s0, 4
	s_addc_u32 s1, s1, 0
	s_mov_b32 s2, 1
	v_mov_b32_e32 v0, 0
	s_branch .LBB3_155
.LBB3_154:                              ;   in Loop: Header=BB3_155 Depth=1
	s_add_i32 s2, s2, 1
	s_add_u32 s0, s0, 4
	s_addc_u32 s1, s1, 0
	s_cmp_lg_u32 s2, s33
	s_cbranch_scc0 .LBB3_159
.LBB3_155:                              ; =>This Loop Header: Depth=1
                                        ;     Child Loop BB3_156 Depth 2
	s_ashr_i32 s3, s2, 31
	s_add_i32 s7, s2, -1
	s_lshl_b64 s[4:5], s[2:3], 2
	s_add_u32 s4, s54, s4
	s_addc_u32 s5, s55, s5
	global_load_dword v1, v0, s[4:5] offset:-4
	s_mov_b64 s[8:9], s[0:1]
	s_mov_b32 s3, s2
	s_mov_b32 s6, s7
	s_waitcnt vmcnt(0)
	v_mov_b32_e32 v2, v1
.LBB3_156:                              ;   Parent Loop BB3_155 Depth=1
                                        ; =>  This Inner Loop Header: Depth=2
	global_load_dword v3, v0, s[8:9]
	s_waitcnt vmcnt(0)
	v_cmp_lt_f32_e32 vcc, v3, v2
	s_and_b64 s[10:11], vcc, exec
	s_cselect_b32 s6, s3, s6
	s_add_i32 s3, s3, 1
	s_add_u32 s8, s8, 4
	s_addc_u32 s9, s9, 0
	v_cndmask_b32_e32 v2, v2, v3, vcc
	s_cmp_eq_u32 s33, s3
	s_cbranch_scc0 .LBB3_156
; %bb.157:                              ;   in Loop: Header=BB3_155 Depth=1
	s_cmp_lg_u32 s6, s7
	s_cbranch_scc0 .LBB3_154
; %bb.158:                              ;   in Loop: Header=BB3_155 Depth=1
	s_ashr_i32 s7, s6, 31
	s_lshl_b64 s[6:7], s[6:7], 2
	s_add_u32 s6, s54, s6
	s_addc_u32 s7, s55, s7
	global_store_dword v0, v1, s[6:7]
	global_store_dword v0, v2, s[4:5] offset:-4
	s_branch .LBB3_154
.LBB3_159:
	s_endpgm
	.section	.rodata,"a",@progbits
	.p2align	6, 0x0
	.amdhsa_kernel _ZN9rocsolver6v33100L12sterf_kernelIfEEviPT_lS3_lPiS4_iS2_S2_S2_
		.amdhsa_group_segment_fixed_size 0
		.amdhsa_private_segment_fixed_size 0
		.amdhsa_kernarg_size 72
		.amdhsa_user_sgpr_count 6
		.amdhsa_user_sgpr_private_segment_buffer 1
		.amdhsa_user_sgpr_dispatch_ptr 0
		.amdhsa_user_sgpr_queue_ptr 0
		.amdhsa_user_sgpr_kernarg_segment_ptr 1
		.amdhsa_user_sgpr_dispatch_id 0
		.amdhsa_user_sgpr_flat_scratch_init 0
		.amdhsa_user_sgpr_private_segment_size 0
		.amdhsa_uses_dynamic_stack 0
		.amdhsa_system_sgpr_private_segment_wavefront_offset 0
		.amdhsa_system_sgpr_workgroup_id_x 1
		.amdhsa_system_sgpr_workgroup_id_y 0
		.amdhsa_system_sgpr_workgroup_id_z 0
		.amdhsa_system_sgpr_workgroup_info 0
		.amdhsa_system_vgpr_workitem_id 0
		.amdhsa_next_free_vgpr 26
		.amdhsa_next_free_sgpr 71
		.amdhsa_reserve_vcc 1
		.amdhsa_reserve_flat_scratch 0
		.amdhsa_float_round_mode_32 0
		.amdhsa_float_round_mode_16_64 0
		.amdhsa_float_denorm_mode_32 3
		.amdhsa_float_denorm_mode_16_64 3
		.amdhsa_dx10_clamp 1
		.amdhsa_ieee_mode 1
		.amdhsa_fp16_overflow 0
		.amdhsa_exception_fp_ieee_invalid_op 0
		.amdhsa_exception_fp_denorm_src 0
		.amdhsa_exception_fp_ieee_div_zero 0
		.amdhsa_exception_fp_ieee_overflow 0
		.amdhsa_exception_fp_ieee_underflow 0
		.amdhsa_exception_fp_ieee_inexact 0
		.amdhsa_exception_int_div_zero 0
	.end_amdhsa_kernel
	.section	.text._ZN9rocsolver6v33100L12sterf_kernelIfEEviPT_lS3_lPiS4_iS2_S2_S2_,"axG",@progbits,_ZN9rocsolver6v33100L12sterf_kernelIfEEviPT_lS3_lPiS4_iS2_S2_S2_,comdat
.Lfunc_end3:
	.size	_ZN9rocsolver6v33100L12sterf_kernelIfEEviPT_lS3_lPiS4_iS2_S2_S2_, .Lfunc_end3-_ZN9rocsolver6v33100L12sterf_kernelIfEEviPT_lS3_lPiS4_iS2_S2_S2_
                                        ; -- End function
	.set _ZN9rocsolver6v33100L12sterf_kernelIfEEviPT_lS3_lPiS4_iS2_S2_S2_.num_vgpr, 26
	.set _ZN9rocsolver6v33100L12sterf_kernelIfEEviPT_lS3_lPiS4_iS2_S2_S2_.num_agpr, 0
	.set _ZN9rocsolver6v33100L12sterf_kernelIfEEviPT_lS3_lPiS4_iS2_S2_S2_.numbered_sgpr, 71
	.set _ZN9rocsolver6v33100L12sterf_kernelIfEEviPT_lS3_lPiS4_iS2_S2_S2_.num_named_barrier, 0
	.set _ZN9rocsolver6v33100L12sterf_kernelIfEEviPT_lS3_lPiS4_iS2_S2_S2_.private_seg_size, 0
	.set _ZN9rocsolver6v33100L12sterf_kernelIfEEviPT_lS3_lPiS4_iS2_S2_S2_.uses_vcc, 1
	.set _ZN9rocsolver6v33100L12sterf_kernelIfEEviPT_lS3_lPiS4_iS2_S2_S2_.uses_flat_scratch, 0
	.set _ZN9rocsolver6v33100L12sterf_kernelIfEEviPT_lS3_lPiS4_iS2_S2_S2_.has_dyn_sized_stack, 0
	.set _ZN9rocsolver6v33100L12sterf_kernelIfEEviPT_lS3_lPiS4_iS2_S2_S2_.has_recursion, 0
	.set _ZN9rocsolver6v33100L12sterf_kernelIfEEviPT_lS3_lPiS4_iS2_S2_S2_.has_indirect_call, 0
	.section	.AMDGPU.csdata,"",@progbits
; Kernel info:
; codeLenInByte = 7652
; TotalNumSgprs: 75
; NumVgprs: 26
; ScratchSize: 0
; MemoryBound: 0
; FloatMode: 240
; IeeeMode: 1
; LDSByteSize: 0 bytes/workgroup (compile time only)
; SGPRBlocks: 9
; VGPRBlocks: 6
; NumSGPRsForWavesPerEU: 75
; NumVGPRsForWavesPerEU: 26
; Occupancy: 9
; WaveLimiterHint : 0
; COMPUTE_PGM_RSRC2:SCRATCH_EN: 0
; COMPUTE_PGM_RSRC2:USER_SGPR: 6
; COMPUTE_PGM_RSRC2:TRAP_HANDLER: 0
; COMPUTE_PGM_RSRC2:TGID_X_EN: 1
; COMPUTE_PGM_RSRC2:TGID_Y_EN: 0
; COMPUTE_PGM_RSRC2:TGID_Z_EN: 0
; COMPUTE_PGM_RSRC2:TIDIG_COMP_CNT: 0
	.section	.text._ZN9rocsolver6v33100L11lasr_kernelIffPfiEEv13rocblas_side_14rocblas_pivot_15rocblas_direct_T2_S6_PT0_lS8_lT1_lS6_lS6_,"axG",@progbits,_ZN9rocsolver6v33100L11lasr_kernelIffPfiEEv13rocblas_side_14rocblas_pivot_15rocblas_direct_T2_S6_PT0_lS8_lT1_lS6_lS6_,comdat
	.globl	_ZN9rocsolver6v33100L11lasr_kernelIffPfiEEv13rocblas_side_14rocblas_pivot_15rocblas_direct_T2_S6_PT0_lS8_lT1_lS6_lS6_ ; -- Begin function _ZN9rocsolver6v33100L11lasr_kernelIffPfiEEv13rocblas_side_14rocblas_pivot_15rocblas_direct_T2_S6_PT0_lS8_lT1_lS6_lS6_
	.p2align	8
	.type	_ZN9rocsolver6v33100L11lasr_kernelIffPfiEEv13rocblas_side_14rocblas_pivot_15rocblas_direct_T2_S6_PT0_lS8_lT1_lS6_lS6_,@function
_ZN9rocsolver6v33100L11lasr_kernelIffPfiEEv13rocblas_side_14rocblas_pivot_15rocblas_direct_T2_S6_PT0_lS8_lT1_lS6_lS6_: ; @_ZN9rocsolver6v33100L11lasr_kernelIffPfiEEv13rocblas_side_14rocblas_pivot_15rocblas_direct_T2_S6_PT0_lS8_lT1_lS6_lS6_
; %bb.0:
	s_load_dword s33, s[4:5], 0x58
	s_waitcnt lgkmcnt(0)
	s_cmp_ge_u32 s7, s33
	s_cbranch_scc1 .LBB4_108
; %bb.1:
	s_load_dword s24, s[4:5], 0x48
	s_load_dwordx2 s[26:27], s[4:5], 0x68
	s_load_dwordx4 s[20:23], s[4:5], 0x38
	s_load_dwordx4 s[16:19], s[4:5], 0x0
	s_load_dword s90, s[4:5], 0x10
	s_waitcnt lgkmcnt(0)
	s_ashr_i32 s25, s24, 31
	s_and_b32 s45, s27, 0xffff
	s_mul_i32 s6, s6, s45
	s_lshl_b64 s[2:3], s[22:23], 2
	v_add_u32_e32 v0, s6, v0
	s_add_u32 s6, s20, s2
	s_addc_u32 s27, s21, s3
	s_cmpk_eq_i32 s16, 0x8d
	s_cselect_b64 s[0:1], -1, 0
	s_cmpk_eq_i32 s16, 0x8e
	s_cselect_b64 s[8:9], -1, 0
	;; [unrolled: 2-line block ×7, first 2 shown]
	s_and_b64 s[22:23], s[0:1], s[10:11]
	s_and_b64 s[30:31], s[0:1], s[14:15]
	;; [unrolled: 1-line block ×5, first 2 shown]
	s_xor_b64 s[36:37], s[0:1], -1
	s_and_b64 s[0:1], s[8:9], s[10:11]
	s_and_b64 s[10:11], s[0:1], s[40:41]
	;; [unrolled: 1-line block ×3, first 2 shown]
	s_xor_b64 s[0:1], s[0:1], -1
                                        ; implicit-def: $vgpr42 : SGPR spill to VGPR lane
	s_xor_b64 s[38:39], s[10:11], -1
	v_writelane_b32 v42, s0, 0
	v_writelane_b32 v42, s1, 1
	s_and_b64 s[0:1], s[8:9], s[14:15]
	s_and_b64 s[10:11], s[0:1], s[40:41]
	s_xor_b64 s[10:11], s[10:11], -1
	v_writelane_b32 v42, s10, 2
	s_and_b64 s[0:1], s[0:1], s[42:43]
	v_writelane_b32 v42, s11, 3
	s_xor_b64 s[0:1], s[0:1], -1
	v_writelane_b32 v42, s0, 4
	s_and_b64 s[8:9], s[8:9], s[12:13]
	v_writelane_b32 v42, s1, 5
	s_and_b64 s[0:1], s[8:9], s[40:41]
	s_xor_b64 s[0:1], s[0:1], -1
	v_writelane_b32 v42, s0, 6
	v_writelane_b32 v42, s1, 7
	v_cmp_gt_i32_e64 s[0:1], s19, v0
	s_and_b64 s[10:11], s[42:43], s[0:1]
	s_and_b64 s[8:9], s[8:9], s[10:11]
	;; [unrolled: 1-line block ×6, first 2 shown]
	v_writelane_b32 v42, s8, 8
	s_xor_b64 s[16:17], s[16:17], -1
	s_xor_b64 s[22:23], s[22:23], -1
	;; [unrolled: 1-line block ×5, first 2 shown]
	v_writelane_b32 v42, s9, 9
	s_add_i32 s91, s90, -1
	s_add_i32 s50, s90, -2
	s_load_dwordx8 s[8:15], s[4:5], 0x18
	s_cmp_gt_i32 s90, 1
	s_cselect_b64 s[52:53], -1, 0
	s_ashr_i32 s55, s19, 31
	s_add_i32 s40, s19, -2
	s_cmp_gt_i32 s19, 1
	s_mov_b32 s51, 0
	s_cselect_b64 s[56:57], -1, 0
	s_lshl_b64 s[42:43], s[50:51], 2
	s_waitcnt lgkmcnt(0)
	s_add_u32 s18, s8, s42
	s_addc_u32 s92, s9, s43
	s_lshl_b64 s[10:11], s[10:11], 2
	s_load_dword s44, s[4:5], 0x60
	v_writelane_b32 v42, s18, 10
	s_add_u32 s93, s12, s42
	s_mul_i32 s18, s25, s50
	s_mul_hi_u32 s41, s24, s50
	s_addc_u32 s94, s13, s43
	s_add_i32 s43, s41, s18
	s_mul_i32 s42, s24, s50
	s_lshl_b64 s[42:43], s[42:43], 2
	s_lshl_b64 s[14:15], s[14:15], 2
	s_load_dwordx2 s[4:5], s[4:5], 0x50
	s_add_u32 s18, s42, s2
	s_addc_u32 s41, s43, s3
	s_add_u32 s18, s20, s18
	v_ashrrev_i32_e32 v1, 31, v0
	s_waitcnt lgkmcnt(0)
	s_mul_i32 s58, s44, s45
	s_addc_u32 s41, s21, s41
	v_lshlrev_b64 v[1:2], 2, v[0:1]
	s_ashr_i32 s59, s58, 31
	s_lshl_b64 s[60:61], s[4:5], 2
	s_lshl_b64 s[62:63], s[58:59], 2
	;; [unrolled: 1-line block ×3, first 2 shown]
	v_add_co_u32_e32 v16, vcc, s18, v1
	s_sub_u32 s59, 0, s64
	s_mul_i32 s18, s25, s91
	s_mul_hi_u32 s25, s24, s91
	s_mul_i32 s66, s24, s91
	s_subb_u32 s95, 0, s65
	s_add_i32 s43, s25, s18
	s_mov_b32 s42, s66
	s_lshl_b64 s[42:43], s[42:43], 2
	s_add_i32 s25, s90, 1
	v_mov_b32_e32 v3, s41
	s_add_u32 s18, s42, s2
	v_addc_co_u32_e32 v17, vcc, v3, v2, vcc
	s_addc_u32 s41, s43, s3
	v_mov_b32_e32 v3, s27
	v_add_co_u32_e32 v18, vcc, s6, v1
	s_add_u32 s18, s20, s18
	v_addc_co_u32_e32 v19, vcc, v3, v2, vcc
	s_addc_u32 s41, s21, s41
	v_mov_b32_e32 v3, s41
	v_add_co_u32_e32 v20, vcc, s18, v1
	s_add_u32 s18, s2, s64
	v_addc_co_u32_e32 v21, vcc, v3, v2, vcc
	s_addc_u32 s41, s3, s65
	v_mad_i64_i32 v[3:4], s[42:43], s24, v0, 0
	s_add_u32 s18, s20, s18
	s_addc_u32 s41, s21, s41
	v_mov_b32_e32 v5, s41
	v_add_co_u32_e32 v22, vcc, s18, v1
	v_addc_co_u32_e32 v23, vcc, v5, v2, vcc
	v_lshlrev_b64 v[1:2], 2, v[3:4]
	s_mov_b32 s41, s51
	v_mov_b32_e32 v3, s3
	v_add_co_u32_e32 v1, vcc, s2, v1
	s_add_i32 s50, s19, -1
	s_lshl_b64 s[2:3], s[40:41], 2
	s_add_u32 s48, s8, s2
	s_addc_u32 s49, s9, s3
	s_add_u32 s46, s12, s2
	s_addc_u32 s47, s13, s3
	s_add_u32 s2, s20, s2
	v_addc_co_u32_e32 v2, vcc, v2, v3, vcc
	s_addc_u32 s3, s21, s3
	v_mov_b32_e32 v3, s3
	v_add_co_u32_e32 v24, vcc, s2, v1
	s_mul_hi_i32 s3, s24, s58
	s_mul_i32 s2, s24, s58
	v_addc_co_u32_e32 v25, vcc, v3, v2, vcc
	s_lshl_b64 s[68:69], s[2:3], 2
	s_add_i32 s44, s19, 1
	s_lshl_b64 s[2:3], s[50:51], 2
	s_add_u32 s2, s20, s2
	v_mov_b32_e32 v3, s21
	v_add_co_u32_e32 v26, vcc, s20, v1
	s_addc_u32 s3, s21, s3
	v_addc_co_u32_e32 v27, vcc, v3, v2, vcc
	v_mov_b32_e32 v3, s3
	v_add_co_u32_e32 v28, vcc, s2, v1
	v_addc_co_u32_e32 v29, vcc, v3, v2, vcc
	v_add_co_u32_e32 v30, vcc, 4, v26
	v_addc_co_u32_e32 v31, vcc, 0, v27, vcc
	;; [unrolled: 2-line block ×3, first 2 shown]
	s_mul_hi_i32 s67, s24, s91
	s_mov_b32 s54, s19
	v_mov_b32_e32 v34, 0
	v_cmp_gt_i32_e64 s[2:3], s90, v0
	s_branch .LBB4_4
.LBB4_2:                                ;   in Loop: Header=BB4_4 Depth=1
	s_or_b64 exec, exec, s[72:73]
.LBB4_3:                                ;   in Loop: Header=BB4_4 Depth=1
	s_add_i32 s7, s7, s26
	s_cmp_ge_u32 s7, s33
	s_cbranch_scc1 .LBB4_108
.LBB4_4:                                ; =>This Loop Header: Depth=1
                                        ;     Child Loop BB4_19 Depth 2
                                        ;       Child Loop BB4_20 Depth 3
                                        ;     Child Loop BB4_26 Depth 2
                                        ;       Child Loop BB4_27 Depth 3
	;; [unrolled: 2-line block ×12, first 2 shown]
	s_mul_i32 s18, s61, s7
	s_mul_hi_u32 s20, s60, s7
	s_add_i32 s43, s20, s18
	s_mul_i32 s18, s11, s7
	s_mul_hi_u32 s20, s10, s7
	s_add_i32 s40, s20, s18
	s_mul_i32 s41, s10, s7
	s_add_u32 s20, s8, s41
	s_mul_i32 s18, s15, s7
	s_mul_hi_u32 s45, s14, s7
	s_addc_u32 s21, s9, s40
	s_add_i32 s79, s45, s18
	s_mul_i32 s78, s14, s7
	s_add_u32 s70, s12, s78
	s_mul_i32 s18, s5, s7
	s_mul_hi_u32 s45, s4, s7
	s_mul_i32 s42, s60, s7
	s_addc_u32 s71, s13, s79
	s_add_i32 s73, s45, s18
	s_mul_i32 s72, s4, s7
	v_mov_b32_e32 v2, s43
	v_add_co_u32_e32 v1, vcc, s42, v30
	s_lshl_b64 s[72:73], s[72:73], 2
	v_addc_co_u32_e32 v2, vcc, v31, v2, vcc
	s_add_u32 s45, s6, s72
	s_addc_u32 s51, s27, s73
	s_and_b64 vcc, exec, s[16:17]
	s_mov_b64 s[72:73], -1
	s_cbranch_vccnz .LBB4_6
; %bb.5:                                ;   in Loop: Header=BB4_4 Depth=1
	s_andn2_b64 vcc, exec, s[72:73]
	s_cbranch_vccnz .LBB4_3
	s_branch .LBB4_103
.LBB4_6:                                ;   in Loop: Header=BB4_4 Depth=1
	s_add_u32 s72, s48, s41
	s_addc_u32 s73, s49, s40
	s_add_u32 s74, s46, s78
	s_addc_u32 s75, s47, s79
	s_mov_b64 s[76:77], -1
	s_and_b64 vcc, exec, s[22:23]
	s_cbranch_vccz .LBB4_95
; %bb.7:                                ;   in Loop: Header=BB4_4 Depth=1
	s_and_b64 vcc, exec, s[28:29]
	s_cbranch_vccz .LBB4_87
; %bb.8:                                ;   in Loop: Header=BB4_4 Depth=1
	;; [unrolled: 3-line block ×3, first 2 shown]
	s_and_b64 vcc, exec, s[34:35]
	s_cbranch_vccz .LBB4_71
; %bb.10:                               ;   in Loop: Header=BB4_4 Depth=1
	s_and_b64 vcc, exec, s[36:37]
	s_cbranch_vccz .LBB4_63
; %bb.11:                               ;   in Loop: Header=BB4_4 Depth=1
	v_mov_b32_e32 v4, s43
	v_add_co_u32_e32 v3, vcc, s42, v18
	v_addc_co_u32_e32 v4, vcc, v19, v4, vcc
	s_and_b64 vcc, exec, s[38:39]
	s_cbranch_vccz .LBB4_55
; %bb.12:                               ;   in Loop: Header=BB4_4 Depth=1
	v_mov_b32_e32 v6, s43
	v_add_co_u32_e32 v5, vcc, s42, v20
	v_readlane_b32 s18, v42, 10
	v_addc_co_u32_e32 v6, vcc, v21, v6, vcc
	s_add_u32 s76, s18, s41
	s_addc_u32 s77, s92, s40
	v_mov_b32_e32 v8, s43
	v_add_co_u32_e32 v7, vcc, s42, v16
	v_readlane_b32 s40, v42, 0
	s_add_u32 s78, s93, s78
	v_addc_co_u32_e32 v8, vcc, v17, v8, vcc
	v_readlane_b32 s41, v42, 1
	s_addc_u32 s79, s94, s79
	s_mov_b64 s[80:81], -1
	s_and_b64 vcc, exec, s[40:41]
	s_cbranch_vccz .LBB4_46
; %bb.13:                               ;   in Loop: Header=BB4_4 Depth=1
	v_readlane_b32 s40, v42, 2
	v_readlane_b32 s41, v42, 3
	s_and_b64 vcc, exec, s[40:41]
	s_cbranch_vccz .LBB4_38
; %bb.14:                               ;   in Loop: Header=BB4_4 Depth=1
	v_readlane_b32 s40, v42, 4
	v_readlane_b32 s41, v42, 5
	s_and_b64 vcc, exec, s[40:41]
	s_cbranch_vccz .LBB4_30
; %bb.15:                               ;   in Loop: Header=BB4_4 Depth=1
	v_readlane_b32 s40, v42, 6
	v_readlane_b32 s41, v42, 7
	s_and_b64 vcc, exec, s[40:41]
	s_cbranch_vccz .LBB4_22
; %bb.16:                               ;   in Loop: Header=BB4_4 Depth=1
	s_mov_b64 s[80:81], exec
	v_readlane_b32 s40, v42, 8
	v_readlane_b32 s41, v42, 9
	s_and_b64 s[40:41], s[80:81], s[40:41]
	s_mov_b64 exec, s[40:41]
	s_cbranch_execz .LBB4_21
; %bb.17:                               ;   in Loop: Header=BB4_4 Depth=1
	s_lshl_b64 s[40:41], s[66:67], 2
	s_add_u32 s40, s45, s40
	v_mov_b32_e32 v10, v8
	s_addc_u32 s41, s51, s41
	s_mov_b64 s[82:83], 0
	v_mov_b32_e32 v9, v7
	v_mov_b32_e32 v11, v0
	s_branch .LBB4_19
.LBB4_18:                               ;   in Loop: Header=BB4_19 Depth=2
	v_add_u32_e32 v11, s58, v11
	v_cmp_le_i32_e32 vcc, s19, v11
	s_waitcnt vmcnt(0)
	global_store_dword v[12:13], v35, off
	v_mov_b32_e32 v12, s63
	s_or_b64 s[82:83], vcc, s[82:83]
	v_add_co_u32_e32 v9, vcc, s62, v9
	v_addc_co_u32_e32 v10, vcc, v10, v12, vcc
	s_andn2_b64 exec, exec, s[82:83]
	s_cbranch_execz .LBB4_21
.LBB4_19:                               ;   Parent Loop BB4_4 Depth=1
                                        ; =>  This Loop Header: Depth=2
                                        ;       Child Loop BB4_20 Depth 3
	v_ashrrev_i32_e32 v12, 31, v11
	v_lshlrev_b64 v[12:13], 2, v[11:12]
	v_mov_b32_e32 v14, s41
	v_add_co_u32_e32 v12, vcc, s40, v12
	v_addc_co_u32_e32 v13, vcc, v14, v13, vcc
	global_load_dword v35, v[12:13], off
	v_mov_b32_e32 v15, v10
	s_andn2_b64 vcc, exec, s[52:53]
	v_mov_b32_e32 v14, v9
	s_mov_b64 s[84:85], s[78:79]
	s_mov_b64 s[86:87], s[76:77]
	s_mov_b32 s18, s91
	s_cbranch_vccnz .LBB4_18
.LBB4_20:                               ;   Parent Loop BB4_4 Depth=1
                                        ;     Parent Loop BB4_19 Depth=2
                                        ; =>    This Inner Loop Header: Depth=3
	global_load_dword v36, v[14:15], off
	global_load_dword v37, v34, s[86:87]
	global_load_dword v38, v34, s[84:85]
	s_add_i32 s18, s18, -1
	s_add_u32 s86, s86, -4
	s_addc_u32 s87, s87, -1
	s_add_u32 s84, s84, -4
	v_mov_b32_e32 v39, s95
	s_addc_u32 s85, s85, -1
	s_cmp_eq_u32 s18, 0
	s_waitcnt vmcnt(1)
	v_mul_f32_e32 v40, v37, v36
	s_waitcnt vmcnt(0)
	v_fmac_f32_e32 v40, v35, v38
	v_mul_f32_e32 v36, v38, v36
	global_store_dword v[14:15], v40, off
	v_add_co_u32_e32 v14, vcc, s59, v14
	v_fma_f32 v35, v35, v37, -v36
	v_addc_co_u32_e32 v15, vcc, v15, v39, vcc
	s_cbranch_scc0 .LBB4_20
	s_branch .LBB4_18
.LBB4_21:                               ;   in Loop: Header=BB4_4 Depth=1
	s_or_b64 exec, exec, s[80:81]
	s_mov_b64 s[80:81], 0
.LBB4_22:                               ;   in Loop: Header=BB4_4 Depth=1
	s_andn2_b64 vcc, exec, s[80:81]
	s_cbranch_vccnz .LBB4_29
; %bb.23:                               ;   in Loop: Header=BB4_4 Depth=1
	s_and_saveexec_b64 s[80:81], s[0:1]
	s_cbranch_execz .LBB4_28
; %bb.24:                               ;   in Loop: Header=BB4_4 Depth=1
	s_lshl_b64 s[40:41], s[66:67], 2
	s_add_u32 s40, s45, s40
	v_mov_b32_e32 v10, v4
	s_addc_u32 s41, s51, s41
	s_mov_b64 s[82:83], 0
	v_mov_b32_e32 v9, v3
	v_mov_b32_e32 v11, v0
	s_branch .LBB4_26
.LBB4_25:                               ;   in Loop: Header=BB4_26 Depth=2
	v_add_u32_e32 v11, s58, v11
	v_cmp_le_i32_e32 vcc, s19, v11
	s_waitcnt vmcnt(0)
	global_store_dword v[12:13], v35, off
	v_mov_b32_e32 v12, s63
	s_or_b64 s[82:83], vcc, s[82:83]
	v_add_co_u32_e32 v9, vcc, s62, v9
	v_addc_co_u32_e32 v10, vcc, v10, v12, vcc
	s_andn2_b64 exec, exec, s[82:83]
	s_cbranch_execz .LBB4_28
.LBB4_26:                               ;   Parent Loop BB4_4 Depth=1
                                        ; =>  This Loop Header: Depth=2
                                        ;       Child Loop BB4_27 Depth 3
	v_ashrrev_i32_e32 v12, 31, v11
	v_lshlrev_b64 v[12:13], 2, v[11:12]
	v_mov_b32_e32 v14, s41
	v_add_co_u32_e32 v12, vcc, s40, v12
	v_addc_co_u32_e32 v13, vcc, v14, v13, vcc
	global_load_dword v35, v[12:13], off
	v_mov_b32_e32 v15, v10
	s_andn2_b64 vcc, exec, s[52:53]
	v_mov_b32_e32 v14, v9
	s_mov_b64 s[84:85], s[70:71]
	s_mov_b64 s[86:87], s[20:21]
	s_mov_b32 s18, s91
	s_cbranch_vccnz .LBB4_25
.LBB4_27:                               ;   Parent Loop BB4_4 Depth=1
                                        ;     Parent Loop BB4_26 Depth=2
                                        ; =>    This Inner Loop Header: Depth=3
	global_load_dword v36, v[14:15], off
	global_load_dword v37, v34, s[86:87]
	global_load_dword v38, v34, s[84:85]
	s_add_i32 s18, s18, -1
	s_add_u32 s86, s86, 4
	s_addc_u32 s87, s87, 0
	s_add_u32 s84, s84, 4
	v_mov_b32_e32 v39, s65
	s_addc_u32 s85, s85, 0
	s_cmp_eq_u32 s18, 0
	s_waitcnt vmcnt(1)
	v_mul_f32_e32 v40, v37, v36
	s_waitcnt vmcnt(0)
	v_fmac_f32_e32 v40, v35, v38
	v_mul_f32_e32 v36, v38, v36
	global_store_dword v[14:15], v40, off
	v_add_co_u32_e32 v14, vcc, s64, v14
	v_fma_f32 v35, v35, v37, -v36
	v_addc_co_u32_e32 v15, vcc, v15, v39, vcc
	s_cbranch_scc0 .LBB4_27
	s_branch .LBB4_25
.LBB4_28:                               ;   in Loop: Header=BB4_4 Depth=1
	s_or_b64 exec, exec, s[80:81]
.LBB4_29:                               ;   in Loop: Header=BB4_4 Depth=1
	s_mov_b64 s[80:81], 0
.LBB4_30:                               ;   in Loop: Header=BB4_4 Depth=1
	s_andn2_b64 vcc, exec, s[80:81]
	s_cbranch_vccnz .LBB4_37
; %bb.31:                               ;   in Loop: Header=BB4_4 Depth=1
	s_and_saveexec_b64 s[80:81], s[0:1]
	s_cbranch_execz .LBB4_36
; %bb.32:                               ;   in Loop: Header=BB4_4 Depth=1
	v_mov_b32_e32 v10, v6
	s_mov_b64 s[82:83], 0
	v_mov_b32_e32 v9, v5
	v_mov_b32_e32 v11, v0
	s_branch .LBB4_34
.LBB4_33:                               ;   in Loop: Header=BB4_34 Depth=2
	v_add_u32_e32 v11, s58, v11
	v_cmp_le_i32_e32 vcc, s19, v11
	s_waitcnt vmcnt(0)
	global_store_dword v[12:13], v35, off
	v_mov_b32_e32 v12, s63
	s_or_b64 s[82:83], vcc, s[82:83]
	v_add_co_u32_e32 v9, vcc, s62, v9
	v_addc_co_u32_e32 v10, vcc, v10, v12, vcc
	s_andn2_b64 exec, exec, s[82:83]
	s_cbranch_execz .LBB4_36
.LBB4_34:                               ;   Parent Loop BB4_4 Depth=1
                                        ; =>  This Loop Header: Depth=2
                                        ;       Child Loop BB4_35 Depth 3
	v_ashrrev_i32_e32 v12, 31, v11
	v_lshlrev_b64 v[12:13], 2, v[11:12]
	v_mov_b32_e32 v14, s51
	v_add_co_u32_e32 v12, vcc, s45, v12
	v_addc_co_u32_e32 v13, vcc, v14, v13, vcc
	global_load_dword v35, v[12:13], off
	v_mov_b32_e32 v15, v10
	s_andn2_b64 vcc, exec, s[52:53]
	v_mov_b32_e32 v14, v9
	s_mov_b64 s[84:85], s[78:79]
	s_mov_b64 s[86:87], s[76:77]
	s_mov_b32 s18, s25
	s_cbranch_vccnz .LBB4_33
.LBB4_35:                               ;   Parent Loop BB4_4 Depth=1
                                        ;     Parent Loop BB4_34 Depth=2
                                        ; =>    This Inner Loop Header: Depth=3
	global_load_dword v36, v34, s[84:85]
	global_load_dword v37, v[14:15], off
	global_load_dword v38, v34, s[86:87]
	s_add_i32 s18, s18, -1
	s_waitcnt vmcnt(3)
	v_mov_b32_e32 v39, v35
	s_add_u32 s86, s86, -4
	s_addc_u32 s87, s87, -1
	s_add_u32 s84, s84, -4
	v_mov_b32_e32 v40, s95
	s_addc_u32 s85, s85, -1
	s_cmp_lt_u32 s18, 3
	s_waitcnt vmcnt(2)
	v_mul_f32_e32 v41, v39, v36
	s_waitcnt vmcnt(1)
	v_mul_f32_e32 v35, v36, v37
	s_waitcnt vmcnt(0)
	v_fma_f32 v36, v38, v37, -v41
	global_store_dword v[14:15], v36, off
	v_add_co_u32_e32 v14, vcc, s59, v14
	v_fmac_f32_e32 v35, v39, v38
	v_addc_co_u32_e32 v15, vcc, v15, v40, vcc
	s_cbranch_scc0 .LBB4_35
	s_branch .LBB4_33
.LBB4_36:                               ;   in Loop: Header=BB4_4 Depth=1
	s_or_b64 exec, exec, s[80:81]
.LBB4_37:                               ;   in Loop: Header=BB4_4 Depth=1
	s_mov_b64 s[80:81], 0
.LBB4_38:                               ;   in Loop: Header=BB4_4 Depth=1
	s_andn2_b64 vcc, exec, s[80:81]
	s_cbranch_vccnz .LBB4_45
; %bb.39:                               ;   in Loop: Header=BB4_4 Depth=1
	s_and_saveexec_b64 s[80:81], s[0:1]
	s_cbranch_execz .LBB4_44
; %bb.40:                               ;   in Loop: Header=BB4_4 Depth=1
	v_mov_b32_e32 v10, s43
	v_add_co_u32_e32 v9, vcc, s42, v22
	v_addc_co_u32_e32 v10, vcc, v23, v10, vcc
	s_mov_b64 s[82:83], 0
	v_mov_b32_e32 v11, v0
	s_branch .LBB4_42
.LBB4_41:                               ;   in Loop: Header=BB4_42 Depth=2
	v_add_u32_e32 v11, s58, v11
	v_cmp_le_i32_e32 vcc, s19, v11
	s_waitcnt vmcnt(0)
	global_store_dword v[12:13], v35, off
	v_mov_b32_e32 v12, s63
	s_or_b64 s[82:83], vcc, s[82:83]
	v_add_co_u32_e32 v9, vcc, s62, v9
	v_addc_co_u32_e32 v10, vcc, v10, v12, vcc
	s_andn2_b64 exec, exec, s[82:83]
	s_cbranch_execz .LBB4_44
.LBB4_42:                               ;   Parent Loop BB4_4 Depth=1
                                        ; =>  This Loop Header: Depth=2
                                        ;       Child Loop BB4_43 Depth 3
	v_ashrrev_i32_e32 v12, 31, v11
	v_lshlrev_b64 v[12:13], 2, v[11:12]
	v_mov_b32_e32 v14, s51
	v_add_co_u32_e32 v12, vcc, s45, v12
	v_addc_co_u32_e32 v13, vcc, v14, v13, vcc
	global_load_dword v35, v[12:13], off
	v_mov_b32_e32 v15, v10
	s_andn2_b64 vcc, exec, s[52:53]
	v_mov_b32_e32 v14, v9
	s_mov_b32 s18, s91
	s_mov_b64 s[84:85], s[20:21]
	s_mov_b64 s[86:87], s[70:71]
	s_cbranch_vccnz .LBB4_41
.LBB4_43:                               ;   Parent Loop BB4_4 Depth=1
                                        ;     Parent Loop BB4_42 Depth=2
                                        ; =>    This Inner Loop Header: Depth=3
	global_load_dword v36, v34, s[86:87]
	global_load_dword v37, v[14:15], off
	global_load_dword v38, v34, s[84:85]
	s_waitcnt vmcnt(3)
	v_mov_b32_e32 v39, v35
	s_add_u32 s86, s86, 4
	s_addc_u32 s87, s87, 0
	s_add_u32 s84, s84, 4
	v_mov_b32_e32 v40, s65
	s_addc_u32 s85, s85, 0
	s_add_i32 s18, s18, -1
	s_cmp_eq_u32 s18, 0
	s_waitcnt vmcnt(2)
	v_mul_f32_e32 v41, v39, v36
	s_waitcnt vmcnt(1)
	v_mul_f32_e32 v35, v36, v37
	s_waitcnt vmcnt(0)
	v_fma_f32 v36, v38, v37, -v41
	global_store_dword v[14:15], v36, off
	v_add_co_u32_e32 v14, vcc, s64, v14
	v_fmac_f32_e32 v35, v39, v38
	v_addc_co_u32_e32 v15, vcc, v15, v40, vcc
	s_cbranch_scc0 .LBB4_43
	s_branch .LBB4_41
.LBB4_44:                               ;   in Loop: Header=BB4_4 Depth=1
	s_or_b64 exec, exec, s[80:81]
.LBB4_45:                               ;   in Loop: Header=BB4_4 Depth=1
	s_mov_b64 s[80:81], 0
.LBB4_46:                               ;   in Loop: Header=BB4_4 Depth=1
	s_andn2_b64 vcc, exec, s[80:81]
	s_cbranch_vccnz .LBB4_54
; %bb.47:                               ;   in Loop: Header=BB4_4 Depth=1
	s_and_saveexec_b64 s[80:81], s[0:1]
	s_cbranch_execz .LBB4_53
; %bb.48:                               ;   in Loop: Header=BB4_4 Depth=1
	s_lshl_b64 s[40:41], s[66:67], 2
	s_add_u32 s40, s45, s40
	s_addc_u32 s41, s51, s41
	s_mov_b64 s[82:83], 0
	v_mov_b32_e32 v9, v0
	s_branch .LBB4_50
.LBB4_49:                               ;   in Loop: Header=BB4_50 Depth=2
	v_mov_b32_e32 v13, s51
	v_add_co_u32_e32 v10, vcc, s45, v10
	v_addc_co_u32_e32 v11, vcc, v13, v11, vcc
	s_waitcnt vmcnt(0)
	global_store_dword v[10:11], v12, off
	v_mov_b32_e32 v10, s63
	v_add_co_u32_e32 v5, vcc, s62, v5
	v_add_u32_e32 v9, s58, v9
	v_addc_co_u32_e32 v6, vcc, v6, v10, vcc
	v_cmp_le_i32_e32 vcc, s19, v9
	s_or_b64 s[82:83], vcc, s[82:83]
	v_add_co_u32_e32 v7, vcc, s62, v7
	v_addc_co_u32_e32 v8, vcc, v8, v10, vcc
	s_andn2_b64 exec, exec, s[82:83]
	s_cbranch_execz .LBB4_53
.LBB4_50:                               ;   Parent Loop BB4_4 Depth=1
                                        ; =>  This Loop Header: Depth=2
                                        ;       Child Loop BB4_52 Depth 3
	v_ashrrev_i32_e32 v10, 31, v9
	v_lshlrev_b64 v[10:11], 2, v[9:10]
	v_mov_b32_e32 v13, s41
	v_add_co_u32_e32 v12, vcc, s40, v10
	v_addc_co_u32_e32 v13, vcc, v13, v11, vcc
	global_load_dword v12, v[12:13], off
	s_andn2_b64 vcc, exec, s[52:53]
	s_cbranch_vccnz .LBB4_49
; %bb.51:                               ;   in Loop: Header=BB4_50 Depth=2
	s_mov_b64 s[84:85], 0
	s_mov_b64 s[86:87], s[78:79]
	;; [unrolled: 1-line block ×3, first 2 shown]
	s_mov_b32 s18, s91
.LBB4_52:                               ;   Parent Loop BB4_4 Depth=1
                                        ;     Parent Loop BB4_50 Depth=2
                                        ; =>    This Inner Loop Header: Depth=3
	v_mov_b32_e32 v35, s85
	v_add_co_u32_e32 v13, vcc, s84, v7
	v_addc_co_u32_e32 v14, vcc, v8, v35, vcc
	global_load_dword v15, v34, s[86:87]
	global_load_dword v36, v[13:14], off
	global_load_dword v37, v34, s[88:89]
	s_add_i32 s18, s18, -1
	v_add_co_u32_e32 v13, vcc, s84, v5
	s_sub_u32 s84, s84, s64
	s_subb_u32 s85, s85, s65
	s_add_u32 s88, s88, -4
	s_addc_u32 s89, s89, -1
	s_add_u32 s86, s86, -4
	s_waitcnt vmcnt(3)
	v_mov_b32_e32 v38, v12
	v_addc_co_u32_e32 v14, vcc, v6, v35, vcc
	s_addc_u32 s87, s87, -1
	s_cmp_eq_u32 s18, 0
	s_waitcnt vmcnt(1)
	v_mul_f32_e32 v35, v15, v36
	s_waitcnt vmcnt(0)
	v_mul_f32_e32 v12, v37, v36
	v_fma_f32 v35, v38, v37, -v35
	v_fmac_f32_e32 v12, v38, v15
	global_store_dword v[13:14], v35, off
	s_cbranch_scc0 .LBB4_52
	s_branch .LBB4_49
.LBB4_53:                               ;   in Loop: Header=BB4_4 Depth=1
	s_or_b64 exec, exec, s[80:81]
.LBB4_54:                               ;   in Loop: Header=BB4_4 Depth=1
	s_mov_b64 s[76:77], 0
.LBB4_55:                               ;   in Loop: Header=BB4_4 Depth=1
	s_andn2_b64 vcc, exec, s[76:77]
	s_cbranch_vccnz .LBB4_62
; %bb.56:                               ;   in Loop: Header=BB4_4 Depth=1
	s_and_saveexec_b64 s[76:77], s[0:1]
	s_cbranch_execz .LBB4_61
; %bb.57:                               ;   in Loop: Header=BB4_4 Depth=1
	s_lshl_b64 s[40:41], s[66:67], 2
	s_add_u32 s40, s45, s40
	s_addc_u32 s41, s51, s41
	s_mov_b64 s[78:79], 0
	v_mov_b32_e32 v5, v0
	s_branch .LBB4_59
.LBB4_58:                               ;   in Loop: Header=BB4_59 Depth=2
	v_mov_b32_e32 v8, s41
	v_add_co_u32_e32 v6, vcc, s40, v6
	v_addc_co_u32_e32 v7, vcc, v8, v7, vcc
	v_add_u32_e32 v5, s58, v5
	v_cmp_le_i32_e32 vcc, s19, v5
	s_waitcnt vmcnt(0)
	global_store_dword v[6:7], v10, off
	v_mov_b32_e32 v6, s63
	s_or_b64 s[78:79], vcc, s[78:79]
	v_add_co_u32_e32 v3, vcc, s62, v3
	v_addc_co_u32_e32 v4, vcc, v4, v6, vcc
	s_andn2_b64 exec, exec, s[78:79]
	s_cbranch_execz .LBB4_61
.LBB4_59:                               ;   Parent Loop BB4_4 Depth=1
                                        ; =>  This Loop Header: Depth=2
                                        ;       Child Loop BB4_60 Depth 3
	v_ashrrev_i32_e32 v6, 31, v5
	v_lshlrev_b64 v[6:7], 2, v[5:6]
	v_mov_b32_e32 v9, s51
	v_add_co_u32_e32 v8, vcc, s45, v6
	v_addc_co_u32_e32 v9, vcc, v9, v7, vcc
	global_load_dword v10, v[8:9], off
	v_mov_b32_e32 v9, v4
	s_andn2_b64 vcc, exec, s[52:53]
	s_mov_b64 s[80:81], s[70:71]
	s_mov_b64 s[82:83], s[20:21]
	v_mov_b32_e32 v8, v3
	s_mov_b32 s18, s91
	s_cbranch_vccnz .LBB4_58
.LBB4_60:                               ;   Parent Loop BB4_4 Depth=1
                                        ;     Parent Loop BB4_59 Depth=2
                                        ; =>    This Inner Loop Header: Depth=3
	v_mov_b32_e32 v12, s65
	v_add_co_u32_e32 v11, vcc, s64, v8
	global_load_dword v13, v34, s[80:81]
	v_addc_co_u32_e32 v12, vcc, v9, v12, vcc
	global_load_dword v14, v[11:12], off
	global_load_dword v15, v34, s[82:83]
	s_add_i32 s18, s18, -1
	s_add_u32 s82, s82, 4
	s_addc_u32 s83, s83, 0
	s_add_u32 s80, s80, 4
	s_addc_u32 s81, s81, 0
	s_cmp_eq_u32 s18, 0
	s_waitcnt vmcnt(2)
	v_mul_f32_e32 v35, v10, v13
	s_waitcnt vmcnt(1)
	v_mul_f32_e32 v13, v13, v14
	s_waitcnt vmcnt(0)
	v_fmac_f32_e32 v13, v10, v15
	global_store_dword v[8:9], v13, off
	v_mov_b32_e32 v8, v11
	v_fma_f32 v10, v15, v14, -v35
	v_mov_b32_e32 v9, v12
	s_cbranch_scc0 .LBB4_60
	s_branch .LBB4_58
.LBB4_61:                               ;   in Loop: Header=BB4_4 Depth=1
	s_or_b64 exec, exec, s[76:77]
.LBB4_62:                               ;   in Loop: Header=BB4_4 Depth=1
	s_mov_b64 s[76:77], 0
.LBB4_63:                               ;   in Loop: Header=BB4_4 Depth=1
	s_andn2_b64 vcc, exec, s[76:77]
	s_cbranch_vccnz .LBB4_70
; %bb.64:                               ;   in Loop: Header=BB4_4 Depth=1
	s_and_saveexec_b64 s[76:77], s[2:3]
	s_cbranch_execz .LBB4_69
; %bb.65:                               ;   in Loop: Header=BB4_4 Depth=1
	s_lshl_b64 s[40:41], s[54:55], 2
	v_mov_b32_e32 v4, s43
	v_add_co_u32_e32 v3, vcc, s42, v24
	s_add_u32 s40, s45, s40
	v_addc_co_u32_e32 v4, vcc, v25, v4, vcc
	s_addc_u32 s41, s51, s41
	s_mov_b64 s[78:79], 0
	v_mov_b32_e32 v9, v0
	s_branch .LBB4_67
.LBB4_66:                               ;   in Loop: Header=BB4_67 Depth=2
	v_add_u32_e32 v9, s58, v9
	v_cmp_le_i32_e32 vcc, s90, v9
	s_waitcnt vmcnt(0)
	global_store_dword v[5:6], v10, off offset:-4
	v_mov_b32_e32 v5, s69
	s_or_b64 s[78:79], vcc, s[78:79]
	v_add_co_u32_e32 v3, vcc, s68, v3
	v_addc_co_u32_e32 v4, vcc, v4, v5, vcc
	s_andn2_b64 exec, exec, s[78:79]
	s_cbranch_execz .LBB4_69
.LBB4_67:                               ;   Parent Loop BB4_4 Depth=1
                                        ; =>  This Loop Header: Depth=2
                                        ;       Child Loop BB4_68 Depth 3
	v_mad_i64_i32 v[5:6], s[80:81], v9, s24, 0
	v_mov_b32_e32 v7, s41
	s_mov_b64 s[80:81], s[74:75]
	v_lshlrev_b64 v[5:6], 2, v[5:6]
	s_mov_b64 s[82:83], s[72:73]
	v_add_co_u32_e32 v5, vcc, s40, v5
	v_addc_co_u32_e32 v6, vcc, v7, v6, vcc
	global_load_dword v10, v[5:6], off offset:-4
	v_mov_b32_e32 v8, v4
	s_andn2_b64 vcc, exec, s[56:57]
	v_mov_b32_e32 v7, v3
	s_mov_b32 s18, s50
	s_cbranch_vccnz .LBB4_66
.LBB4_68:                               ;   Parent Loop BB4_4 Depth=1
                                        ;     Parent Loop BB4_67 Depth=2
                                        ; =>    This Inner Loop Header: Depth=3
	global_load_dword v11, v[7:8], off
	global_load_dword v12, v34, s[82:83]
	global_load_dword v13, v34, s[80:81]
	s_add_i32 s18, s18, -1
	s_add_u32 s82, s82, -4
	s_addc_u32 s83, s83, -1
	s_add_u32 s80, s80, -4
	s_addc_u32 s81, s81, -1
	s_cmp_eq_u32 s18, 0
	s_waitcnt vmcnt(1)
	v_mul_f32_e32 v14, v12, v11
	s_waitcnt vmcnt(0)
	v_fmac_f32_e32 v14, v10, v13
	v_mul_f32_e32 v11, v13, v11
	global_store_dword v[7:8], v14, off
	v_add_co_u32_e32 v7, vcc, -4, v7
	v_fma_f32 v10, v10, v12, -v11
	v_addc_co_u32_e32 v8, vcc, -1, v8, vcc
	s_cbranch_scc0 .LBB4_68
	s_branch .LBB4_66
.LBB4_69:                               ;   in Loop: Header=BB4_4 Depth=1
	s_or_b64 exec, exec, s[76:77]
.LBB4_70:                               ;   in Loop: Header=BB4_4 Depth=1
	s_mov_b64 s[76:77], 0
.LBB4_71:                               ;   in Loop: Header=BB4_4 Depth=1
	s_andn2_b64 vcc, exec, s[76:77]
	s_cbranch_vccnz .LBB4_78
; %bb.72:                               ;   in Loop: Header=BB4_4 Depth=1
	s_and_saveexec_b64 s[76:77], s[2:3]
	s_cbranch_execz .LBB4_77
; %bb.73:                               ;   in Loop: Header=BB4_4 Depth=1
	s_lshl_b64 s[40:41], s[54:55], 2
	v_mov_b32_e32 v4, s43
	v_add_co_u32_e32 v3, vcc, s42, v26
	s_add_u32 s40, s45, s40
	v_addc_co_u32_e32 v4, vcc, v27, v4, vcc
	s_addc_u32 s41, s51, s41
	s_mov_b64 s[78:79], 0
	v_mov_b32_e32 v9, v0
	s_branch .LBB4_75
.LBB4_74:                               ;   in Loop: Header=BB4_75 Depth=2
	v_add_u32_e32 v9, s58, v9
	v_cmp_le_i32_e32 vcc, s90, v9
	s_waitcnt vmcnt(0)
	global_store_dword v[5:6], v10, off offset:-4
	v_mov_b32_e32 v5, s69
	s_or_b64 s[78:79], vcc, s[78:79]
	v_add_co_u32_e32 v3, vcc, s68, v3
	v_addc_co_u32_e32 v4, vcc, v4, v5, vcc
	s_andn2_b64 exec, exec, s[78:79]
	s_cbranch_execz .LBB4_77
.LBB4_75:                               ;   Parent Loop BB4_4 Depth=1
                                        ; =>  This Loop Header: Depth=2
                                        ;       Child Loop BB4_76 Depth 3
	v_mad_i64_i32 v[5:6], s[80:81], v9, s24, 0
	v_mov_b32_e32 v7, s41
	s_mov_b64 s[80:81], s[70:71]
	v_lshlrev_b64 v[5:6], 2, v[5:6]
	s_mov_b64 s[82:83], s[20:21]
	v_add_co_u32_e32 v5, vcc, s40, v5
	v_addc_co_u32_e32 v6, vcc, v7, v6, vcc
	global_load_dword v10, v[5:6], off offset:-4
	v_mov_b32_e32 v8, v4
	s_andn2_b64 vcc, exec, s[56:57]
	v_mov_b32_e32 v7, v3
	s_mov_b32 s18, s50
	s_cbranch_vccnz .LBB4_74
.LBB4_76:                               ;   Parent Loop BB4_4 Depth=1
                                        ;     Parent Loop BB4_75 Depth=2
                                        ; =>    This Inner Loop Header: Depth=3
	global_load_dword v11, v[7:8], off
	global_load_dword v12, v34, s[82:83]
	global_load_dword v13, v34, s[80:81]
	s_add_i32 s18, s18, -1
	s_add_u32 s82, s82, 4
	s_addc_u32 s83, s83, 0
	s_add_u32 s80, s80, 4
	s_addc_u32 s81, s81, 0
	s_cmp_eq_u32 s18, 0
	s_waitcnt vmcnt(1)
	v_mul_f32_e32 v14, v12, v11
	s_waitcnt vmcnt(0)
	v_fmac_f32_e32 v14, v10, v13
	v_mul_f32_e32 v11, v13, v11
	global_store_dword v[7:8], v14, off
	v_add_co_u32_e32 v7, vcc, 4, v7
	v_fma_f32 v10, v10, v12, -v11
	v_addc_co_u32_e32 v8, vcc, 0, v8, vcc
	s_cbranch_scc0 .LBB4_76
	s_branch .LBB4_74
.LBB4_77:                               ;   in Loop: Header=BB4_4 Depth=1
	s_or_b64 exec, exec, s[76:77]
.LBB4_78:                               ;   in Loop: Header=BB4_4 Depth=1
	s_mov_b64 s[76:77], 0
.LBB4_79:                               ;   in Loop: Header=BB4_4 Depth=1
	s_andn2_b64 vcc, exec, s[76:77]
	s_cbranch_vccnz .LBB4_86
; %bb.80:                               ;   in Loop: Header=BB4_4 Depth=1
	s_and_saveexec_b64 s[76:77], s[2:3]
	s_cbranch_execz .LBB4_85
; %bb.81:                               ;   in Loop: Header=BB4_4 Depth=1
	v_mov_b32_e32 v4, s43
	v_add_co_u32_e32 v3, vcc, s42, v28
	v_addc_co_u32_e32 v4, vcc, v29, v4, vcc
	s_mov_b64 s[78:79], 0
	v_mov_b32_e32 v9, v0
	s_branch .LBB4_83
.LBB4_82:                               ;   in Loop: Header=BB4_83 Depth=2
	v_add_u32_e32 v9, s58, v9
	v_cmp_le_i32_e32 vcc, s90, v9
	s_waitcnt vmcnt(0)
	global_store_dword v[5:6], v10, off
	v_mov_b32_e32 v5, s69
	s_or_b64 s[78:79], vcc, s[78:79]
	v_add_co_u32_e32 v3, vcc, s68, v3
	v_addc_co_u32_e32 v4, vcc, v4, v5, vcc
	s_andn2_b64 exec, exec, s[78:79]
	s_cbranch_execz .LBB4_85
.LBB4_83:                               ;   Parent Loop BB4_4 Depth=1
                                        ; =>  This Loop Header: Depth=2
                                        ;       Child Loop BB4_84 Depth 3
	v_mad_i64_i32 v[5:6], s[40:41], v9, s24, 0
	v_mov_b32_e32 v7, s51
	s_mov_b64 s[80:81], s[74:75]
	v_lshlrev_b64 v[5:6], 2, v[5:6]
	s_mov_b64 s[82:83], s[72:73]
	v_add_co_u32_e32 v5, vcc, s45, v5
	v_addc_co_u32_e32 v6, vcc, v7, v6, vcc
	global_load_dword v10, v[5:6], off
	v_mov_b32_e32 v8, v4
	s_andn2_b64 vcc, exec, s[56:57]
	v_mov_b32_e32 v7, v3
	s_mov_b32 s18, s44
	s_cbranch_vccnz .LBB4_82
.LBB4_84:                               ;   Parent Loop BB4_4 Depth=1
                                        ;     Parent Loop BB4_83 Depth=2
                                        ; =>    This Inner Loop Header: Depth=3
	global_load_dword v11, v34, s[80:81]
	global_load_dword v12, v[7:8], off
	global_load_dword v13, v34, s[82:83]
	s_add_i32 s18, s18, -1
	s_waitcnt vmcnt(3)
	v_mov_b32_e32 v14, v10
	s_add_u32 s82, s82, -4
	s_addc_u32 s83, s83, -1
	s_add_u32 s80, s80, -4
	s_addc_u32 s81, s81, -1
	s_cmp_lt_u32 s18, 3
	s_waitcnt vmcnt(2)
	v_mul_f32_e32 v15, v14, v11
	s_waitcnt vmcnt(1)
	v_mul_f32_e32 v10, v11, v12
	s_waitcnt vmcnt(0)
	v_fma_f32 v11, v13, v12, -v15
	global_store_dword v[7:8], v11, off
	v_add_co_u32_e32 v7, vcc, -4, v7
	v_fmac_f32_e32 v10, v14, v13
	v_addc_co_u32_e32 v8, vcc, -1, v8, vcc
	s_cbranch_scc0 .LBB4_84
	s_branch .LBB4_82
.LBB4_85:                               ;   in Loop: Header=BB4_4 Depth=1
	s_or_b64 exec, exec, s[76:77]
.LBB4_86:                               ;   in Loop: Header=BB4_4 Depth=1
	s_mov_b64 s[76:77], 0
.LBB4_87:                               ;   in Loop: Header=BB4_4 Depth=1
	s_andn2_b64 vcc, exec, s[76:77]
	s_cbranch_vccnz .LBB4_94
; %bb.88:                               ;   in Loop: Header=BB4_4 Depth=1
	s_and_saveexec_b64 s[76:77], s[2:3]
	s_cbranch_execz .LBB4_93
; %bb.89:                               ;   in Loop: Header=BB4_4 Depth=1
	v_mov_b32_e32 v4, v2
	s_mov_b64 s[78:79], 0
	v_mov_b32_e32 v3, v1
	v_mov_b32_e32 v9, v0
	s_branch .LBB4_91
.LBB4_90:                               ;   in Loop: Header=BB4_91 Depth=2
	v_add_u32_e32 v9, s58, v9
	v_cmp_le_i32_e32 vcc, s90, v9
	s_waitcnt vmcnt(0)
	global_store_dword v[5:6], v10, off
	v_mov_b32_e32 v5, s69
	s_or_b64 s[78:79], vcc, s[78:79]
	v_add_co_u32_e32 v3, vcc, s68, v3
	v_addc_co_u32_e32 v4, vcc, v4, v5, vcc
	s_andn2_b64 exec, exec, s[78:79]
	s_cbranch_execz .LBB4_93
.LBB4_91:                               ;   Parent Loop BB4_4 Depth=1
                                        ; =>  This Loop Header: Depth=2
                                        ;       Child Loop BB4_92 Depth 3
	v_mad_i64_i32 v[5:6], s[40:41], v9, s24, 0
	v_mov_b32_e32 v7, s51
	s_mov_b32 s18, s50
	v_lshlrev_b64 v[5:6], 2, v[5:6]
	s_mov_b64 s[80:81], s[20:21]
	v_add_co_u32_e32 v5, vcc, s45, v5
	v_addc_co_u32_e32 v6, vcc, v7, v6, vcc
	global_load_dword v10, v[5:6], off
	v_mov_b32_e32 v8, v4
	s_andn2_b64 vcc, exec, s[56:57]
	v_mov_b32_e32 v7, v3
	s_mov_b64 s[82:83], s[70:71]
	s_cbranch_vccnz .LBB4_90
.LBB4_92:                               ;   Parent Loop BB4_4 Depth=1
                                        ;     Parent Loop BB4_91 Depth=2
                                        ; =>    This Inner Loop Header: Depth=3
	global_load_dword v11, v34, s[82:83]
	global_load_dword v12, v[7:8], off
	global_load_dword v13, v34, s[80:81]
	s_waitcnt vmcnt(3)
	v_mov_b32_e32 v14, v10
	s_add_u32 s82, s82, 4
	s_addc_u32 s83, s83, 0
	s_add_u32 s80, s80, 4
	s_addc_u32 s81, s81, 0
	s_add_i32 s18, s18, -1
	s_cmp_eq_u32 s18, 0
	s_waitcnt vmcnt(2)
	v_mul_f32_e32 v15, v14, v11
	s_waitcnt vmcnt(1)
	v_mul_f32_e32 v10, v11, v12
	s_waitcnt vmcnt(0)
	v_fma_f32 v11, v13, v12, -v15
	global_store_dword v[7:8], v11, off
	v_add_co_u32_e32 v7, vcc, 4, v7
	v_fmac_f32_e32 v10, v14, v13
	v_addc_co_u32_e32 v8, vcc, 0, v8, vcc
	s_cbranch_scc0 .LBB4_92
	s_branch .LBB4_90
.LBB4_93:                               ;   in Loop: Header=BB4_4 Depth=1
	s_or_b64 exec, exec, s[76:77]
.LBB4_94:                               ;   in Loop: Header=BB4_4 Depth=1
	s_mov_b64 s[76:77], 0
.LBB4_95:                               ;   in Loop: Header=BB4_4 Depth=1
	s_andn2_b64 vcc, exec, s[76:77]
	s_cbranch_vccnz .LBB4_102
; %bb.96:                               ;   in Loop: Header=BB4_4 Depth=1
	s_and_saveexec_b64 s[76:77], s[2:3]
	s_cbranch_execz .LBB4_101
; %bb.97:                               ;   in Loop: Header=BB4_4 Depth=1
	s_lshl_b64 s[40:41], s[54:55], 2
	v_mov_b32_e32 v4, s43
	v_add_co_u32_e32 v3, vcc, s42, v32
	s_add_u32 s40, s45, s40
	v_addc_co_u32_e32 v4, vcc, v33, v4, vcc
	s_addc_u32 s41, s51, s41
	s_mov_b64 s[78:79], 0
	v_mov_b32_e32 v9, v0
	s_branch .LBB4_99
.LBB4_98:                               ;   in Loop: Header=BB4_99 Depth=2
	v_mov_b32_e32 v7, s51
	v_add_co_u32_e32 v5, vcc, s45, v5
	v_addc_co_u32_e32 v6, vcc, v7, v6, vcc
	v_add_u32_e32 v9, s58, v9
	v_cmp_le_i32_e32 vcc, s90, v9
	s_waitcnt vmcnt(0)
	global_store_dword v[5:6], v10, off
	v_mov_b32_e32 v5, s69
	s_or_b64 s[78:79], vcc, s[78:79]
	v_add_co_u32_e32 v3, vcc, s68, v3
	v_addc_co_u32_e32 v4, vcc, v4, v5, vcc
	s_andn2_b64 exec, exec, s[78:79]
	s_cbranch_execz .LBB4_101
.LBB4_99:                               ;   Parent Loop BB4_4 Depth=1
                                        ; =>  This Loop Header: Depth=2
                                        ;       Child Loop BB4_100 Depth 3
	v_mad_i64_i32 v[5:6], s[42:43], v9, s24, 0
	v_mov_b32_e32 v8, s41
	s_mov_b64 s[80:81], s[74:75]
	v_lshlrev_b64 v[5:6], 2, v[5:6]
	s_mov_b64 s[82:83], s[72:73]
	v_add_co_u32_e32 v7, vcc, s40, v5
	v_addc_co_u32_e32 v8, vcc, v8, v6, vcc
	global_load_dword v10, v[7:8], off offset:-4
	v_mov_b32_e32 v8, v4
	s_andn2_b64 vcc, exec, s[56:57]
	v_mov_b32_e32 v7, v3
	s_mov_b32 s18, s50
	s_cbranch_vccnz .LBB4_98
.LBB4_100:                              ;   Parent Loop BB4_4 Depth=1
                                        ;     Parent Loop BB4_99 Depth=2
                                        ; =>    This Inner Loop Header: Depth=3
	global_load_dword v13, v[7:8], off offset:-4
	global_load_dword v14, v34, s[80:81]
	global_load_dword v15, v34, s[82:83]
	s_add_i32 s18, s18, -1
	s_add_u32 s82, s82, -4
	s_waitcnt vmcnt(3)
	v_mov_b32_e32 v35, v10
	s_addc_u32 s83, s83, -1
	v_add_co_u32_e32 v11, vcc, -4, v7
	s_add_u32 s80, s80, -4
	v_addc_co_u32_e32 v12, vcc, -1, v8, vcc
	s_addc_u32 s81, s81, -1
	s_cmp_eq_u32 s18, 0
	s_waitcnt vmcnt(1)
	v_mul_f32_e32 v36, v14, v13
	s_waitcnt vmcnt(0)
	v_mul_f32_e32 v10, v15, v13
	v_fma_f32 v13, v35, v15, -v36
	global_store_dword v[7:8], v13, off
	v_mov_b32_e32 v7, v11
	v_fmac_f32_e32 v10, v35, v14
	v_mov_b32_e32 v8, v12
	s_cbranch_scc0 .LBB4_100
	s_branch .LBB4_98
.LBB4_101:                              ;   in Loop: Header=BB4_4 Depth=1
	s_or_b64 exec, exec, s[76:77]
.LBB4_102:                              ;   in Loop: Header=BB4_4 Depth=1
	s_cbranch_execnz .LBB4_3
.LBB4_103:                              ;   in Loop: Header=BB4_4 Depth=1
	s_and_saveexec_b64 s[72:73], s[2:3]
	s_cbranch_execz .LBB4_2
; %bb.104:                              ;   in Loop: Header=BB4_4 Depth=1
	s_lshl_b64 s[40:41], s[54:55], 2
	s_add_u32 s40, s45, s40
	s_addc_u32 s41, s51, s41
	s_mov_b64 s[74:75], 0
	v_mov_b32_e32 v7, v0
	s_branch .LBB4_106
.LBB4_105:                              ;   in Loop: Header=BB4_106 Depth=2
	v_mov_b32_e32 v5, s41
	v_add_co_u32_e32 v3, vcc, s40, v3
	v_addc_co_u32_e32 v4, vcc, v5, v4, vcc
	v_add_u32_e32 v7, s58, v7
	v_cmp_le_i32_e32 vcc, s90, v7
	s_waitcnt vmcnt(0)
	global_store_dword v[3:4], v8, off offset:-4
	v_mov_b32_e32 v3, s69
	s_or_b64 s[74:75], vcc, s[74:75]
	v_add_co_u32_e32 v1, vcc, s68, v1
	v_addc_co_u32_e32 v2, vcc, v2, v3, vcc
	s_andn2_b64 exec, exec, s[74:75]
	s_cbranch_execz .LBB4_2
.LBB4_106:                              ;   Parent Loop BB4_4 Depth=1
                                        ; =>  This Loop Header: Depth=2
                                        ;       Child Loop BB4_107 Depth 3
	v_mad_i64_i32 v[3:4], s[42:43], v7, s24, 0
	v_mov_b32_e32 v6, s51
	s_mov_b64 s[76:77], s[70:71]
	v_lshlrev_b64 v[3:4], 2, v[3:4]
	s_mov_b64 s[78:79], s[20:21]
	v_add_co_u32_e32 v5, vcc, s45, v3
	v_addc_co_u32_e32 v6, vcc, v6, v4, vcc
	global_load_dword v8, v[5:6], off
	v_mov_b32_e32 v6, v2
	s_andn2_b64 vcc, exec, s[56:57]
	v_mov_b32_e32 v5, v1
	s_mov_b32 s42, s50
	s_cbranch_vccnz .LBB4_105
.LBB4_107:                              ;   Parent Loop BB4_4 Depth=1
                                        ;     Parent Loop BB4_106 Depth=2
                                        ; =>    This Inner Loop Header: Depth=3
	global_load_dword v9, v34, s[78:79]
	global_load_dword v10, v34, s[76:77]
	global_load_dword v11, v[5:6], off
	s_add_i32 s42, s42, -1
	s_add_u32 s78, s78, 4
	s_addc_u32 s79, s79, 0
	s_add_u32 s76, s76, 4
	s_addc_u32 s77, s77, 0
	s_cmp_eq_u32 s42, 0
	s_waitcnt vmcnt(0)
	v_mul_f32_e32 v12, v10, v11
	v_fmac_f32_e32 v12, v8, v9
	global_store_dword v[5:6], v12, off offset:-4
	v_mul_f32_e32 v8, v8, v10
	v_add_co_u32_e32 v5, vcc, 4, v5
	v_fma_f32 v8, v9, v11, -v8
	v_addc_co_u32_e32 v6, vcc, 0, v6, vcc
	s_cbranch_scc0 .LBB4_107
	s_branch .LBB4_105
.LBB4_108:
	s_endpgm
	.section	.rodata,"a",@progbits
	.p2align	6, 0x0
	.amdhsa_kernel _ZN9rocsolver6v33100L11lasr_kernelIffPfiEEv13rocblas_side_14rocblas_pivot_15rocblas_direct_T2_S6_PT0_lS8_lT1_lS6_lS6_
		.amdhsa_group_segment_fixed_size 0
		.amdhsa_private_segment_fixed_size 0
		.amdhsa_kernarg_size 352
		.amdhsa_user_sgpr_count 6
		.amdhsa_user_sgpr_private_segment_buffer 1
		.amdhsa_user_sgpr_dispatch_ptr 0
		.amdhsa_user_sgpr_queue_ptr 0
		.amdhsa_user_sgpr_kernarg_segment_ptr 1
		.amdhsa_user_sgpr_dispatch_id 0
		.amdhsa_user_sgpr_flat_scratch_init 0
		.amdhsa_user_sgpr_private_segment_size 0
		.amdhsa_uses_dynamic_stack 0
		.amdhsa_system_sgpr_private_segment_wavefront_offset 0
		.amdhsa_system_sgpr_workgroup_id_x 1
		.amdhsa_system_sgpr_workgroup_id_y 0
		.amdhsa_system_sgpr_workgroup_id_z 1
		.amdhsa_system_sgpr_workgroup_info 0
		.amdhsa_system_vgpr_workitem_id 0
		.amdhsa_next_free_vgpr 43
		.amdhsa_next_free_sgpr 96
		.amdhsa_reserve_vcc 1
		.amdhsa_reserve_flat_scratch 0
		.amdhsa_float_round_mode_32 0
		.amdhsa_float_round_mode_16_64 0
		.amdhsa_float_denorm_mode_32 3
		.amdhsa_float_denorm_mode_16_64 3
		.amdhsa_dx10_clamp 1
		.amdhsa_ieee_mode 1
		.amdhsa_fp16_overflow 0
		.amdhsa_exception_fp_ieee_invalid_op 0
		.amdhsa_exception_fp_denorm_src 0
		.amdhsa_exception_fp_ieee_div_zero 0
		.amdhsa_exception_fp_ieee_overflow 0
		.amdhsa_exception_fp_ieee_underflow 0
		.amdhsa_exception_fp_ieee_inexact 0
		.amdhsa_exception_int_div_zero 0
	.end_amdhsa_kernel
	.section	.text._ZN9rocsolver6v33100L11lasr_kernelIffPfiEEv13rocblas_side_14rocblas_pivot_15rocblas_direct_T2_S6_PT0_lS8_lT1_lS6_lS6_,"axG",@progbits,_ZN9rocsolver6v33100L11lasr_kernelIffPfiEEv13rocblas_side_14rocblas_pivot_15rocblas_direct_T2_S6_PT0_lS8_lT1_lS6_lS6_,comdat
.Lfunc_end4:
	.size	_ZN9rocsolver6v33100L11lasr_kernelIffPfiEEv13rocblas_side_14rocblas_pivot_15rocblas_direct_T2_S6_PT0_lS8_lT1_lS6_lS6_, .Lfunc_end4-_ZN9rocsolver6v33100L11lasr_kernelIffPfiEEv13rocblas_side_14rocblas_pivot_15rocblas_direct_T2_S6_PT0_lS8_lT1_lS6_lS6_
                                        ; -- End function
	.set _ZN9rocsolver6v33100L11lasr_kernelIffPfiEEv13rocblas_side_14rocblas_pivot_15rocblas_direct_T2_S6_PT0_lS8_lT1_lS6_lS6_.num_vgpr, 43
	.set _ZN9rocsolver6v33100L11lasr_kernelIffPfiEEv13rocblas_side_14rocblas_pivot_15rocblas_direct_T2_S6_PT0_lS8_lT1_lS6_lS6_.num_agpr, 0
	.set _ZN9rocsolver6v33100L11lasr_kernelIffPfiEEv13rocblas_side_14rocblas_pivot_15rocblas_direct_T2_S6_PT0_lS8_lT1_lS6_lS6_.numbered_sgpr, 96
	.set _ZN9rocsolver6v33100L11lasr_kernelIffPfiEEv13rocblas_side_14rocblas_pivot_15rocblas_direct_T2_S6_PT0_lS8_lT1_lS6_lS6_.num_named_barrier, 0
	.set _ZN9rocsolver6v33100L11lasr_kernelIffPfiEEv13rocblas_side_14rocblas_pivot_15rocblas_direct_T2_S6_PT0_lS8_lT1_lS6_lS6_.private_seg_size, 0
	.set _ZN9rocsolver6v33100L11lasr_kernelIffPfiEEv13rocblas_side_14rocblas_pivot_15rocblas_direct_T2_S6_PT0_lS8_lT1_lS6_lS6_.uses_vcc, 1
	.set _ZN9rocsolver6v33100L11lasr_kernelIffPfiEEv13rocblas_side_14rocblas_pivot_15rocblas_direct_T2_S6_PT0_lS8_lT1_lS6_lS6_.uses_flat_scratch, 0
	.set _ZN9rocsolver6v33100L11lasr_kernelIffPfiEEv13rocblas_side_14rocblas_pivot_15rocblas_direct_T2_S6_PT0_lS8_lT1_lS6_lS6_.has_dyn_sized_stack, 0
	.set _ZN9rocsolver6v33100L11lasr_kernelIffPfiEEv13rocblas_side_14rocblas_pivot_15rocblas_direct_T2_S6_PT0_lS8_lT1_lS6_lS6_.has_recursion, 0
	.set _ZN9rocsolver6v33100L11lasr_kernelIffPfiEEv13rocblas_side_14rocblas_pivot_15rocblas_direct_T2_S6_PT0_lS8_lT1_lS6_lS6_.has_indirect_call, 0
	.section	.AMDGPU.csdata,"",@progbits
; Kernel info:
; codeLenInByte = 4456
; TotalNumSgprs: 100
; NumVgprs: 43
; ScratchSize: 0
; MemoryBound: 0
; FloatMode: 240
; IeeeMode: 1
; LDSByteSize: 0 bytes/workgroup (compile time only)
; SGPRBlocks: 12
; VGPRBlocks: 10
; NumSGPRsForWavesPerEU: 100
; NumVGPRsForWavesPerEU: 43
; Occupancy: 5
; WaveLimiterHint : 0
; COMPUTE_PGM_RSRC2:SCRATCH_EN: 0
; COMPUTE_PGM_RSRC2:USER_SGPR: 6
; COMPUTE_PGM_RSRC2:TRAP_HANDLER: 0
; COMPUTE_PGM_RSRC2:TGID_X_EN: 1
; COMPUTE_PGM_RSRC2:TGID_Y_EN: 0
; COMPUTE_PGM_RSRC2:TGID_Z_EN: 1
; COMPUTE_PGM_RSRC2:TIDIG_COMP_CNT: 0
	.section	.text._ZN9rocsolver6v33100L11swap_kernelIfiEEvT0_PT_S2_S4_S2_,"axG",@progbits,_ZN9rocsolver6v33100L11swap_kernelIfiEEvT0_PT_S2_S4_S2_,comdat
	.globl	_ZN9rocsolver6v33100L11swap_kernelIfiEEvT0_PT_S2_S4_S2_ ; -- Begin function _ZN9rocsolver6v33100L11swap_kernelIfiEEvT0_PT_S2_S4_S2_
	.p2align	8
	.type	_ZN9rocsolver6v33100L11swap_kernelIfiEEvT0_PT_S2_S4_S2_,@function
_ZN9rocsolver6v33100L11swap_kernelIfiEEvT0_PT_S2_S4_S2_: ; @_ZN9rocsolver6v33100L11swap_kernelIfiEEvT0_PT_S2_S4_S2_
; %bb.0:
	s_load_dword s16, s[4:5], 0x0
	s_waitcnt lgkmcnt(0)
	s_cmp_lt_i32 s16, 1
	s_cbranch_scc1 .LBB5_10
; %bb.1:
	s_load_dword s0, s[4:5], 0x28
	s_load_dword s1, s[4:5], 0x34
	s_load_dwordx2 s[2:3], s[4:5], 0x8
	s_load_dword s12, s[4:5], 0x10
	s_load_dwordx2 s[8:9], s[4:5], 0x18
	s_load_dword s10, s[4:5], 0x20
	s_waitcnt lgkmcnt(0)
	s_and_b32 s1, s1, 0xffff
	s_mul_i32 s6, s6, s1
	s_cmp_eq_u32 s12, 1
	s_mul_i32 s4, s0, s1
	s_cselect_b64 s[0:1], -1, 0
	s_cmp_eq_u32 s10, 1
	v_add_u32_e32 v0, s6, v0
	s_cselect_b64 s[6:7], -1, 0
	s_and_b64 s[14:15], s[0:1], s[6:7]
	v_cmp_gt_i32_e64 s[0:1], s16, v0
	s_mov_b64 s[6:7], -1
	s_and_b64 vcc, exec, s[14:15]
	s_cbranch_vccnz .LBB5_6
; %bb.2:
	s_and_saveexec_b64 s[6:7], s[0:1]
	s_cbranch_execz .LBB5_5
; %bb.3:
	v_mad_i64_i32 v[1:2], s[14:15], s10, v0, 0
	v_mov_b32_e32 v3, s9
	s_mul_hi_i32 s11, s10, s4
	v_lshlrev_b64 v[1:2], 2, v[1:2]
	s_mul_i32 s10, s10, s4
	v_add_co_u32_e32 v1, vcc, s8, v1
	v_addc_co_u32_e32 v2, vcc, v3, v2, vcc
	v_mad_i64_i32 v[3:4], s[14:15], s12, v0, 0
	s_mul_hi_i32 s13, s12, s4
	s_mul_i32 s12, s12, s4
	v_lshlrev_b64 v[3:4], 2, v[3:4]
	s_lshl_b64 s[10:11], s[10:11], 2
	v_mov_b32_e32 v5, s3
	v_add_co_u32_e32 v3, vcc, s2, v3
	s_lshl_b64 s[12:13], s[12:13], 2
	v_addc_co_u32_e32 v4, vcc, v5, v4, vcc
	s_mov_b64 s[14:15], 0
	v_mov_b32_e32 v5, s11
	v_mov_b32_e32 v6, s13
	;; [unrolled: 1-line block ×3, first 2 shown]
.LBB5_4:                                ; =>This Inner Loop Header: Depth=1
	global_load_dword v8, v[3:4], off
	global_load_dword v9, v[1:2], off
	v_add_u32_e32 v7, s4, v7
	v_cmp_le_i32_e32 vcc, s16, v7
	s_or_b64 s[14:15], vcc, s[14:15]
	s_waitcnt vmcnt(1)
	global_store_dword v[1:2], v8, off
	s_waitcnt vmcnt(1)
	global_store_dword v[3:4], v9, off
	v_add_co_u32_e32 v1, vcc, s10, v1
	v_addc_co_u32_e32 v2, vcc, v2, v5, vcc
	v_add_co_u32_e32 v3, vcc, s12, v3
	v_addc_co_u32_e32 v4, vcc, v4, v6, vcc
	s_andn2_b64 exec, exec, s[14:15]
	s_cbranch_execnz .LBB5_4
.LBB5_5:
	s_or_b64 exec, exec, s[6:7]
	s_mov_b64 s[6:7], 0
.LBB5_6:
	s_andn2_b64 vcc, exec, s[6:7]
	s_cbranch_vccnz .LBB5_10
; %bb.7:
	s_and_saveexec_b64 s[6:7], s[0:1]
	s_cbranch_execz .LBB5_10
; %bb.8:
	v_ashrrev_i32_e32 v1, 31, v0
	s_ashr_i32 s5, s4, 31
	v_lshlrev_b64 v[1:2], 2, v[0:1]
	s_lshl_b64 s[0:1], s[4:5], 2
	s_mov_b64 s[6:7], 0
	v_mov_b32_e32 v3, s9
	v_mov_b32_e32 v4, s3
	;; [unrolled: 1-line block ×3, first 2 shown]
.LBB5_9:                                ; =>This Inner Loop Header: Depth=1
	v_add_co_u32_e32 v6, vcc, s8, v1
	v_addc_co_u32_e32 v7, vcc, v3, v2, vcc
	v_add_co_u32_e32 v8, vcc, s2, v1
	v_addc_co_u32_e32 v9, vcc, v4, v2, vcc
	global_load_dword v10, v[8:9], off
	global_load_dword v11, v[6:7], off
	v_add_co_u32_e32 v1, vcc, s0, v1
	v_add_u32_e32 v0, s4, v0
	v_addc_co_u32_e32 v2, vcc, v2, v5, vcc
	v_cmp_le_i32_e32 vcc, s16, v0
	s_or_b64 s[6:7], vcc, s[6:7]
	s_waitcnt vmcnt(1)
	global_store_dword v[6:7], v10, off
	s_waitcnt vmcnt(1)
	global_store_dword v[8:9], v11, off
	s_andn2_b64 exec, exec, s[6:7]
	s_cbranch_execnz .LBB5_9
.LBB5_10:
	s_endpgm
	.section	.rodata,"a",@progbits
	.p2align	6, 0x0
	.amdhsa_kernel _ZN9rocsolver6v33100L11swap_kernelIfiEEvT0_PT_S2_S4_S2_
		.amdhsa_group_segment_fixed_size 0
		.amdhsa_private_segment_fixed_size 0
		.amdhsa_kernarg_size 296
		.amdhsa_user_sgpr_count 6
		.amdhsa_user_sgpr_private_segment_buffer 1
		.amdhsa_user_sgpr_dispatch_ptr 0
		.amdhsa_user_sgpr_queue_ptr 0
		.amdhsa_user_sgpr_kernarg_segment_ptr 1
		.amdhsa_user_sgpr_dispatch_id 0
		.amdhsa_user_sgpr_flat_scratch_init 0
		.amdhsa_user_sgpr_private_segment_size 0
		.amdhsa_uses_dynamic_stack 0
		.amdhsa_system_sgpr_private_segment_wavefront_offset 0
		.amdhsa_system_sgpr_workgroup_id_x 1
		.amdhsa_system_sgpr_workgroup_id_y 0
		.amdhsa_system_sgpr_workgroup_id_z 0
		.amdhsa_system_sgpr_workgroup_info 0
		.amdhsa_system_vgpr_workitem_id 0
		.amdhsa_next_free_vgpr 12
		.amdhsa_next_free_sgpr 17
		.amdhsa_reserve_vcc 1
		.amdhsa_reserve_flat_scratch 0
		.amdhsa_float_round_mode_32 0
		.amdhsa_float_round_mode_16_64 0
		.amdhsa_float_denorm_mode_32 3
		.amdhsa_float_denorm_mode_16_64 3
		.amdhsa_dx10_clamp 1
		.amdhsa_ieee_mode 1
		.amdhsa_fp16_overflow 0
		.amdhsa_exception_fp_ieee_invalid_op 0
		.amdhsa_exception_fp_denorm_src 0
		.amdhsa_exception_fp_ieee_div_zero 0
		.amdhsa_exception_fp_ieee_overflow 0
		.amdhsa_exception_fp_ieee_underflow 0
		.amdhsa_exception_fp_ieee_inexact 0
		.amdhsa_exception_int_div_zero 0
	.end_amdhsa_kernel
	.section	.text._ZN9rocsolver6v33100L11swap_kernelIfiEEvT0_PT_S2_S4_S2_,"axG",@progbits,_ZN9rocsolver6v33100L11swap_kernelIfiEEvT0_PT_S2_S4_S2_,comdat
.Lfunc_end5:
	.size	_ZN9rocsolver6v33100L11swap_kernelIfiEEvT0_PT_S2_S4_S2_, .Lfunc_end5-_ZN9rocsolver6v33100L11swap_kernelIfiEEvT0_PT_S2_S4_S2_
                                        ; -- End function
	.set _ZN9rocsolver6v33100L11swap_kernelIfiEEvT0_PT_S2_S4_S2_.num_vgpr, 12
	.set _ZN9rocsolver6v33100L11swap_kernelIfiEEvT0_PT_S2_S4_S2_.num_agpr, 0
	.set _ZN9rocsolver6v33100L11swap_kernelIfiEEvT0_PT_S2_S4_S2_.numbered_sgpr, 17
	.set _ZN9rocsolver6v33100L11swap_kernelIfiEEvT0_PT_S2_S4_S2_.num_named_barrier, 0
	.set _ZN9rocsolver6v33100L11swap_kernelIfiEEvT0_PT_S2_S4_S2_.private_seg_size, 0
	.set _ZN9rocsolver6v33100L11swap_kernelIfiEEvT0_PT_S2_S4_S2_.uses_vcc, 1
	.set _ZN9rocsolver6v33100L11swap_kernelIfiEEvT0_PT_S2_S4_S2_.uses_flat_scratch, 0
	.set _ZN9rocsolver6v33100L11swap_kernelIfiEEvT0_PT_S2_S4_S2_.has_dyn_sized_stack, 0
	.set _ZN9rocsolver6v33100L11swap_kernelIfiEEvT0_PT_S2_S4_S2_.has_recursion, 0
	.set _ZN9rocsolver6v33100L11swap_kernelIfiEEvT0_PT_S2_S4_S2_.has_indirect_call, 0
	.section	.AMDGPU.csdata,"",@progbits
; Kernel info:
; codeLenInByte = 460
; TotalNumSgprs: 21
; NumVgprs: 12
; ScratchSize: 0
; MemoryBound: 0
; FloatMode: 240
; IeeeMode: 1
; LDSByteSize: 0 bytes/workgroup (compile time only)
; SGPRBlocks: 2
; VGPRBlocks: 2
; NumSGPRsForWavesPerEU: 21
; NumVGPRsForWavesPerEU: 12
; Occupancy: 10
; WaveLimiterHint : 0
; COMPUTE_PGM_RSRC2:SCRATCH_EN: 0
; COMPUTE_PGM_RSRC2:USER_SGPR: 6
; COMPUTE_PGM_RSRC2:TRAP_HANDLER: 0
; COMPUTE_PGM_RSRC2:TGID_X_EN: 1
; COMPUTE_PGM_RSRC2:TGID_Y_EN: 0
; COMPUTE_PGM_RSRC2:TGID_Z_EN: 0
; COMPUTE_PGM_RSRC2:TIDIG_COMP_CNT: 0
	.section	.text._ZN9rocsolver6v33100L12steqr_kernelIffPfEEviPT0_lS4_lT1_iilPiS4_iS3_S3_S3_,"axG",@progbits,_ZN9rocsolver6v33100L12steqr_kernelIffPfEEviPT0_lS4_lT1_iilPiS4_iS3_S3_S3_,comdat
	.globl	_ZN9rocsolver6v33100L12steqr_kernelIffPfEEviPT0_lS4_lT1_iilPiS4_iS3_S3_S3_ ; -- Begin function _ZN9rocsolver6v33100L12steqr_kernelIffPfEEviPT0_lS4_lT1_iilPiS4_iS3_S3_S3_
	.p2align	8
	.type	_ZN9rocsolver6v33100L12steqr_kernelIffPfEEviPT0_lS4_lT1_iilPiS4_iS3_S3_S3_,@function
_ZN9rocsolver6v33100L12steqr_kernelIffPfEEviPT0_lS4_lT1_iilPiS4_iS3_S3_S3_: ; @_ZN9rocsolver6v33100L12steqr_kernelIffPfEEviPT0_lS4_lT1_iilPiS4_iS3_S3_S3_
; %bb.0:
	s_mov_b32 s38, s7
	s_load_dword s0, s[4:5], 0x6c
	s_load_dword s7, s[4:5], 0x60
	s_waitcnt lgkmcnt(0)
	s_and_b32 s11, s0, 0xffff
	s_mul_i32 s6, s6, s11
	v_add_u32_e32 v0, s6, v0
	v_cmp_eq_u32_e64 s[0:1], 0, v0
	s_and_saveexec_b64 s[2:3], s[0:1]
; %bb.1:
	v_mov_b32_e32 v1, 0
	ds_write2_b32 v1, v1, v1 offset0:3 offset1:7
; %bb.2:
	s_or_b64 exec, exec, s[2:3]
	s_load_dword s10, s[4:5], 0x0
	s_load_dwordx8 s[20:27], s[4:5], 0x8
	s_load_dwordx8 s[12:19], s[4:5], 0x28
	s_load_dwordx2 s[8:9], s[4:5], 0x48
	s_load_dwordx4 s[28:31], s[4:5], 0x50
	s_ashr_i32 s39, s38, 31
	s_waitcnt lgkmcnt(0)
	s_mul_hi_u32 s2, s22, s38
	s_mul_i32 s3, s22, s39
	s_add_i32 s2, s2, s3
	s_mul_i32 s3, s23, s38
	s_add_i32 s3, s2, s3
	s_mul_i32 s2, s22, s38
	v_mov_b32_e32 v34, 0
	s_lshl_b64 s[36:37], s[2:3], 2
	s_barrier
	ds_read2_b32 v[1:2], v34 offset0:3 offset1:7
	s_add_u32 s22, s20, s36
	s_mul_hi_u32 s2, s26, s38
	s_mul_i32 s3, s26, s39
	s_addc_u32 s23, s21, s37
	s_add_i32 s2, s2, s3
	s_mul_i32 s3, s27, s38
	s_add_i32 s43, s2, s3
	s_mul_hi_u32 s2, s16, s38
	s_mul_i32 s3, s16, s39
	s_add_i32 s2, s2, s3
	s_mul_i32 s3, s17, s38
	s_add_i32 s17, s2, s3
	s_waitcnt lgkmcnt(0)
	v_cmp_gt_i32_e32 vcc, s10, v1
	v_cmp_gt_i32_e64 s[2:3], s28, v2
	s_and_b64 s[2:3], vcc, s[2:3]
	s_mul_i32 s34, s7, s11
	s_mul_i32 s42, s26, s38
	s_ashr_i32 s27, s14, 31
	s_mov_b32 s26, s14
	s_mul_i32 s16, s16, s38
	v_readfirstlane_b32 s6, v1
	s_andn2_b64 vcc, exec, s[2:3]
	s_add_i32 s40, s10, -1
	s_cbranch_vccnz .LBB6_223
; %bb.3:
	s_lshl_b32 s7, s10, 1
	s_lshl_b64 s[2:3], s[42:43], 2
	s_add_u32 s14, s24, s2
	s_addc_u32 s33, s25, s3
	s_lshl_b64 s[2:3], s[16:17], 2
	s_add_u32 s11, s12, s2
	s_addc_u32 s35, s13, s3
	s_lshl_b64 s[4:5], s[26:27], 2
	s_add_u32 s86, s11, s4
	s_mul_hi_i32 s45, s7, s38
	s_mul_i32 s44, s7, s38
	s_addc_u32 s87, s35, s5
	s_lshl_b64 s[50:51], s[44:45], 2
	s_add_u32 s88, s8, s50
	s_addc_u32 s89, s9, s51
	s_ashr_i32 s11, s10, 31
	s_ashr_i32 s45, s15, 31
	s_add_u32 s90, s20, s36
	s_addc_u32 s91, s21, s37
	s_add_u32 s92, s90, 4
	s_addc_u32 s93, s91, 0
	s_ashr_i32 s35, s34, 31
	s_lshl_b64 s[46:47], s[34:35], 2
	s_lshl_b64 s[48:49], s[10:11], 2
	s_add_u32 s7, s50, s48
	s_addc_u32 s11, s51, s49
	s_add_u32 s7, s8, s7
	s_addc_u32 s8, s9, s11
	s_add_u32 s50, s7, -8
	s_addc_u32 s51, s8, -1
	s_add_u32 s52, s88, -4
	s_addc_u32 s53, s89, -1
	;; [unrolled: 2-line block ×4, first 2 shown]
	s_add_u32 s2, s2, s4
	s_addc_u32 s3, s3, s5
	s_mov_b32 s44, s15
	s_add_u32 s2, s12, s2
	v_ashrrev_i32_e32 v1, 31, v0
	s_addc_u32 s3, s13, s3
	s_lshl_b64 s[56:57], s[44:45], 2
	v_lshlrev_b64 v[1:2], 2, v[0:1]
	s_sub_u32 s94, 0, s56
                                        ; implicit-def: $vgpr60 : SGPR spill to VGPR lane
	s_subb_u32 s95, 0, s57
	v_writelane_b32 v60, s50, 0
	v_mov_b32_e32 v3, s3
	v_add_co_u32_e32 v36, vcc, s2, v1
	s_mov_b32 s76, 0x667f3bcd
	s_add_u32 s58, s90, -4
	v_writelane_b32 v60, s51, 1
	v_mul_f32_e64 v35, s29, s29
	v_addc_co_u32_e32 v37, vcc, v3, v2, vcc
	v_mov_b32_e32 v38, 0x260
	s_mov_b32 s77, 0x3ff6a09e
	s_addc_u32 s59, s91, -1
	s_mov_b32 s50, 0xf800000
	s_mov_b32 s51, 0x4f800000
	v_cmp_gt_i32_e64 s[2:3], s10, v0
	s_mov_b32 s61, 0
                                        ; implicit-def: $vgpr41
                                        ; implicit-def: $vgpr9_vgpr10
                                        ; implicit-def: $vgpr11_vgpr12
                                        ; implicit-def: $vgpr13_vgpr14
                                        ; implicit-def: $vgpr1_vgpr2
                                        ; implicit-def: $vgpr40
                                        ; implicit-def: $vgpr7_vgpr8
                                        ; implicit-def: $vgpr39
                                        ; implicit-def: $vgpr3_vgpr4
                                        ; implicit-def: $vgpr5_vgpr6
	s_branch .LBB6_7
.LBB6_4:                                ;   in Loop: Header=BB6_7 Depth=1
	s_or_b64 exec, exec, s[4:5]
.LBB6_5:                                ;   in Loop: Header=BB6_7 Depth=1
	s_waitcnt vmcnt(0)
	s_barrier
.LBB6_6:                                ;   in Loop: Header=BB6_7 Depth=1
	ds_read2_b32 v[15:16], v34 offset0:3 offset1:7
	s_waitcnt lgkmcnt(0)
	v_cmp_gt_i32_e32 vcc, s10, v15
	v_cmp_gt_i32_e64 s[4:5], s28, v16
	s_and_b64 s[4:5], vcc, s[4:5]
	s_andn2_b64 vcc, exec, s[4:5]
	v_readfirstlane_b32 s6, v15
	s_cbranch_vccnz .LBB6_223
.LBB6_7:                                ; =>This Loop Header: Depth=1
                                        ;     Child Loop BB6_15 Depth 2
                                        ;     Child Loop BB6_28 Depth 2
	;; [unrolled: 1-line block ×5, first 2 shown]
                                        ;       Child Loop BB6_61 Depth 3
                                        ;       Child Loop BB6_81 Depth 3
	;; [unrolled: 1-line block ×3, first 2 shown]
                                        ;         Child Loop BB6_129 Depth 4
                                        ;     Child Loop BB6_133 Depth 2
                                        ;       Child Loop BB6_139 Depth 3
                                        ;       Child Loop BB6_159 Depth 3
                                        ;       Child Loop BB6_206 Depth 3
                                        ;         Child Loop BB6_207 Depth 4
                                        ;     Child Loop BB6_215 Depth 2
                                        ;     Child Loop BB6_222 Depth 2
	s_and_saveexec_b64 s[8:9], s[0:1]
	s_cbranch_execz .LBB6_31
; %bb.8:                                ;   in Loop: Header=BB6_7 Depth=1
	s_cmp_lt_i32 s6, 1
	s_cbranch_scc1 .LBB6_10
; %bb.9:                                ;   in Loop: Header=BB6_7 Depth=1
	s_mov_b32 s7, s61
	s_lshl_b64 s[4:5], s[6:7], 2
	s_add_u32 s4, s14, s4
	s_addc_u32 s5, s33, s5
	global_store_dword v34, v34, s[4:5] offset:-4
.LBB6_10:                               ;   in Loop: Header=BB6_7 Depth=1
	s_mov_b64 s[64:65], -1
	s_mov_b64 s[4:5], 0
	s_cmp_lt_i32 s6, s40
	s_mov_b64 s[62:63], 0
	s_cbranch_scc1 .LBB6_12
; %bb.11:                               ;   in Loop: Header=BB6_7 Depth=1
	s_ashr_i32 s7, s6, 31
	s_mov_b64 s[64:65], 0
	s_mov_b64 s[62:63], -1
.LBB6_12:                               ;   in Loop: Header=BB6_7 Depth=1
	s_andn2_b64 vcc, exec, s[64:65]
	s_cbranch_vccnz .LBB6_17
; %bb.13:                               ;   in Loop: Header=BB6_7 Depth=1
	s_ashr_i32 s7, s6, 31
	s_lshl_b64 s[64:65], s[6:7], 2
	s_add_u32 s4, s14, s64
	s_addc_u32 s5, s33, s65
	s_add_u32 s68, s92, s64
	s_addc_u32 s69, s93, s65
	s_mov_b64 s[70:71], s[6:7]
	s_branch .LBB6_15
.LBB6_14:                               ;   in Loop: Header=BB6_15 Depth=2
	s_andn2_b64 vcc, exec, s[74:75]
	s_cbranch_vccz .LBB6_18
.LBB6_15:                               ;   Parent Loop BB6_7 Depth=1
                                        ; =>  This Inner Loop Header: Depth=2
	s_nop 0
	global_load_dword v11, v34, s[4:5]
	global_load_dwordx2 v[9:10], v34, s[68:69] offset:-4
	s_mov_b64 s[64:65], s[4:5]
	s_mov_b64 s[66:67], s[70:71]
	s_mov_b64 s[72:73], -1
	s_mov_b64 s[74:75], -1
                                        ; implicit-def: $sgpr70_sgpr71
	s_waitcnt vmcnt(0)
	v_cmp_lt_f32_e64 vcc, |v9|, s50
	v_mul_f32_e64 v12, |v9|, s51
	v_cndmask_b32_e64 v9, |v9|, v12, vcc
	v_sqrt_f32_e32 v12, v9
	v_add_u32_e32 v13, -1, v12
	v_fma_f32 v14, -v13, v12, v9
	v_cmp_ge_f32_e64 s[4:5], 0, v14
	v_add_u32_e32 v14, 1, v12
	v_cndmask_b32_e64 v13, v12, v13, s[4:5]
	v_fma_f32 v12, -v14, v12, v9
	v_cmp_lt_f32_e64 s[4:5], 0, v12
	v_cndmask_b32_e64 v12, v13, v14, s[4:5]
	v_mul_f32_e32 v13, 0x37800000, v12
	v_cndmask_b32_e32 v12, v12, v13, vcc
	v_cmp_class_f32_e32 vcc, v9, v38
	v_cndmask_b32_e32 v9, v12, v9, vcc
	v_cmp_lt_f32_e64 vcc, |v10|, s50
	v_mul_f32_e64 v12, |v10|, s51
	v_cndmask_b32_e64 v10, |v10|, v12, vcc
	v_sqrt_f32_e32 v12, v10
	v_add_u32_e32 v13, -1, v12
	v_fma_f32 v14, -v13, v12, v10
	v_cmp_ge_f32_e64 s[4:5], 0, v14
	v_add_u32_e32 v14, 1, v12
	v_cndmask_b32_e64 v13, v12, v13, s[4:5]
	v_fma_f32 v12, -v14, v12, v10
	v_cmp_lt_f32_e64 s[4:5], 0, v12
	v_cndmask_b32_e64 v12, v13, v14, s[4:5]
	v_mul_f32_e32 v13, 0x37800000, v12
	v_cndmask_b32_e32 v12, v12, v13, vcc
	v_cmp_class_f32_e32 vcc, v10, v38
	v_cndmask_b32_e32 v10, v12, v10, vcc
	v_mul_f32_e32 v9, v9, v10
	v_mul_f32_e32 v9, s29, v9
	v_cmp_nle_f32_e64 s[4:5], |v11|, v9
	s_and_b64 vcc, exec, s[4:5]
                                        ; implicit-def: $sgpr4_sgpr5
	s_cbranch_vccz .LBB6_14
; %bb.16:                               ;   in Loop: Header=BB6_15 Depth=2
	s_add_u32 s70, s66, 1
	s_addc_u32 s71, s67, 0
	s_add_u32 s4, s64, 4
	s_addc_u32 s5, s65, 0
	;; [unrolled: 2-line block ×3, first 2 shown]
	s_cmp_ge_i32 s70, s40
	s_mov_b64 s[72:73], 0
	s_cselect_b64 s[74:75], -1, 0
	s_branch .LBB6_14
.LBB6_17:                               ;   in Loop: Header=BB6_7 Depth=1
	s_mov_b32 s41, s6
	s_mov_b64 s[68:69], s[6:7]
	s_and_b64 vcc, exec, s[62:63]
	s_cbranch_vccnz .LBB6_21
	s_branch .LBB6_22
.LBB6_18:                               ;   in Loop: Header=BB6_7 Depth=1
	s_xor_b64 s[68:69], s[72:73], -1
	s_mov_b64 s[4:5], -1
	s_and_b64 vcc, exec, s[68:69]
                                        ; implicit-def: $sgpr68_sgpr69
	s_cbranch_vccz .LBB6_20
; %bb.19:                               ;   in Loop: Header=BB6_7 Depth=1
	s_ashr_i32 s41, s40, 31
	s_mov_b64 s[62:63], -1
	s_mov_b64 s[4:5], 0
	s_mov_b64 s[68:69], s[40:41]
.LBB6_20:                               ;   in Loop: Header=BB6_7 Depth=1
	v_mov_b32_e32 v9, s66
	v_mov_b32_e32 v11, s64
	;; [unrolled: 1-line block ×7, first 2 shown]
	s_mov_b32 s41, s40
	s_and_b64 vcc, exec, s[62:63]
	s_cbranch_vccz .LBB6_22
.LBB6_21:                               ;   in Loop: Header=BB6_7 Depth=1
	v_mov_b32_e32 v15, s41
	ds_write_b32 v34, v15 offset:4
.LBB6_22:                               ;   in Loop: Header=BB6_7 Depth=1
	v_mov_b32_e32 v16, s7
	v_mov_b32_e32 v17, s68
	s_andn2_b64 vcc, exec, s[4:5]
	v_mov_b32_e32 v15, s6
	v_mov_b32_e32 v18, s69
	v_mov_b32_e32 v19, s41
	s_cbranch_vccnz .LBB6_24
; %bb.23:                               ;   in Loop: Header=BB6_7 Depth=1
	v_mov_b32_e32 v16, v14
	v_mov_b32_e32 v18, v10
	;; [unrolled: 1-line block ×5, first 2 shown]
	ds_write_b32 v34, v41 offset:4
	global_store_dword v[11:12], v34, off
.LBB6_24:                               ;   in Loop: Header=BB6_7 Depth=1
	v_lshlrev_b64 v[17:18], 2, v[17:18]
	v_mov_b32_e32 v21, s23
	v_add_co_u32_e32 v20, vcc, s22, v17
	v_addc_co_u32_e32 v21, vcc, v21, v18, vcc
	v_lshlrev_b64 v[17:18], 2, v[15:16]
	v_mov_b32_e32 v15, s23
	v_add_co_u32_e32 v22, vcc, s22, v17
	v_addc_co_u32_e32 v23, vcc, v15, v18, vcc
	global_load_dword v15, v[20:21], off
	global_load_dword v16, v[22:23], off
	v_mov_b32_e32 v20, s6
	ds_write2_b32 v34, v20, v19 offset1:5
	ds_write_b32 v34, v19 offset:32
	v_add_u32_e32 v20, 1, v19
	v_mov_b32_e32 v21, s6
	ds_write2_b32 v34, v20, v21 offset0:3 offset1:4
	s_waitcnt vmcnt(0)
	v_cmp_lt_f32_e64 s[62:63], |v15|, |v16|
	s_and_saveexec_b64 s[4:5], s[62:63]
; %bb.25:                               ;   in Loop: Header=BB6_7 Depth=1
	v_mov_b32_e32 v16, s6
	ds_write2_b32 v34, v19, v16 offset1:5
; %bb.26:                               ;   in Loop: Header=BB6_7 Depth=1
	s_or_b64 exec, exec, s[4:5]
	v_and_b32_e32 v20, 0x7fffffff, v15
	v_cmp_lt_i32_e32 vcc, s6, v19
	s_and_saveexec_b64 s[4:5], vcc
	s_cbranch_execz .LBB6_30
; %bb.27:                               ;   in Loop: Header=BB6_7 Depth=1
	v_mov_b32_e32 v16, s91
	v_add_co_u32_e32 v15, vcc, s90, v17
	v_addc_co_u32_e32 v16, vcc, v16, v18, vcc
	v_mov_b32_e32 v21, s33
	v_add_co_u32_e32 v17, vcc, s14, v17
	v_addc_co_u32_e32 v18, vcc, v21, v18, vcc
	s_mov_b64 s[62:63], 0
.LBB6_28:                               ;   Parent Loop BB6_7 Depth=1
                                        ; =>  This Inner Loop Header: Depth=2
	global_load_dword v21, v[15:16], off
	global_load_dword v22, v[17:18], off
	v_add_co_u32_e32 v15, vcc, 4, v15
	v_addc_co_u32_e32 v16, vcc, 0, v16, vcc
	v_add_co_u32_e32 v17, vcc, 4, v17
	s_add_i32 s6, s6, 1
	v_addc_co_u32_e32 v18, vcc, 0, v18, vcc
	v_cmp_ge_i32_e32 vcc, s6, v19
	s_or_b64 s[62:63], vcc, s[62:63]
	s_waitcnt vmcnt(0)
	v_max3_f32 v20, v20, |v21|, |v22|
	s_andn2_b64 exec, exec, s[62:63]
	s_cbranch_execnz .LBB6_28
; %bb.29:                               ;   in Loop: Header=BB6_7 Depth=1
	s_or_b64 exec, exec, s[62:63]
.LBB6_30:                               ;   in Loop: Header=BB6_7 Depth=1
	s_or_b64 exec, exec, s[4:5]
	ds_write_b32 v34, v20 offset:24
.LBB6_31:                               ;   in Loop: Header=BB6_7 Depth=1
	s_or_b64 exec, exec, s[8:9]
	s_waitcnt lgkmcnt(0)
	s_barrier
	ds_read2_b32 v[15:16], v34 offset0:5 offset1:6
	ds_read_b32 v17, v34
	s_waitcnt lgkmcnt(1)
	v_cmp_eq_f32_e64 s[4:5], 0, v16
	s_waitcnt lgkmcnt(0)
	v_cmp_eq_u32_e32 vcc, v15, v17
	s_or_b64 s[4:5], vcc, s[4:5]
	s_and_b64 vcc, exec, s[4:5]
	s_cbranch_vccnz .LBB6_6
; %bb.32:                               ;   in Loop: Header=BB6_7 Depth=1
	v_cmp_nlt_f32_e32 vcc, s31, v16
	s_mov_b64 s[4:5], -1
	s_cbranch_vccz .LBB6_41
; %bb.33:                               ;   in Loop: Header=BB6_7 Depth=1
	v_cmp_ngt_f32_e32 vcc, s30, v16
	s_cbranch_vccnz .LBB6_40
; %bb.34:                               ;   in Loop: Header=BB6_7 Depth=1
	v_div_scale_f32 v15, s[4:5], s30, s30, v16
	v_div_scale_f32 v17, vcc, v16, s30, v16
	v_rcp_f32_e32 v18, v15
	v_fma_f32 v19, -v15, v18, 1.0
	v_fmac_f32_e32 v18, v19, v18
	v_mul_f32_e32 v19, v17, v18
	v_fma_f32 v20, -v15, v19, v17
	v_fmac_f32_e32 v19, v20, v18
	v_fma_f32 v15, -v15, v19, v17
	v_div_fmas_f32 v15, v15, v18, v19
	ds_read2_b32 v[17:18], v34 offset0:4 offset1:8
	v_div_fixup_f32 v15, v15, s30, v16
	s_and_saveexec_b64 s[4:5], s[0:1]
	s_cbranch_execz .LBB6_36
; %bb.35:                               ;   in Loop: Header=BB6_7 Depth=1
	s_waitcnt lgkmcnt(0)
	v_ashrrev_i32_e32 v20, 31, v18
	v_mov_b32_e32 v19, v18
	v_lshlrev_b64 v[19:20], 2, v[19:20]
	v_mov_b32_e32 v21, s23
	v_add_co_u32_e32 v19, vcc, s22, v19
	v_addc_co_u32_e32 v20, vcc, v21, v20, vcc
	global_load_dword v21, v[19:20], off
	s_waitcnt vmcnt(0)
	v_mul_f32_e32 v21, v15, v21
	global_store_dword v[19:20], v21, off
.LBB6_36:                               ;   in Loop: Header=BB6_7 Depth=1
	s_or_b64 exec, exec, s[4:5]
	s_waitcnt lgkmcnt(0)
	v_add_u32_e32 v19, v17, v0
	v_cmp_lt_i32_e32 vcc, v19, v18
	s_and_saveexec_b64 s[4:5], vcc
	s_cbranch_execz .LBB6_39
; %bb.37:                               ;   in Loop: Header=BB6_7 Depth=1
	v_ashrrev_i32_e32 v20, 31, v19
	v_lshlrev_b64 v[20:21], 2, v[19:20]
	s_mov_b64 s[6:7], 0
.LBB6_38:                               ;   Parent Loop BB6_7 Depth=1
                                        ; =>  This Inner Loop Header: Depth=2
	v_mov_b32_e32 v17, s23
	v_add_co_u32_e32 v22, vcc, s22, v20
	v_addc_co_u32_e32 v23, vcc, v17, v21, vcc
	global_load_dword v17, v[22:23], off
	v_mov_b32_e32 v25, s33
	v_add_co_u32_e32 v24, vcc, s14, v20
	v_addc_co_u32_e32 v25, vcc, v25, v21, vcc
	v_add_co_u32_e32 v20, vcc, s46, v20
	v_add_u32_e32 v19, s34, v19
	s_waitcnt vmcnt(0)
	v_mul_f32_e32 v17, v15, v17
	global_store_dword v[22:23], v17, off
	global_load_dword v17, v[24:25], off
	v_mov_b32_e32 v22, s47
	v_addc_co_u32_e32 v21, vcc, v21, v22, vcc
	v_cmp_ge_i32_e32 vcc, v19, v18
	s_or_b64 s[6:7], vcc, s[6:7]
	s_waitcnt vmcnt(0)
	v_mul_f32_e32 v17, v15, v17
	global_store_dword v[24:25], v17, off
	s_andn2_b64 exec, exec, s[6:7]
	s_cbranch_execnz .LBB6_38
.LBB6_39:                               ;   in Loop: Header=BB6_7 Depth=1
	s_or_b64 exec, exec, s[4:5]
.LBB6_40:                               ;   in Loop: Header=BB6_7 Depth=1
	s_mov_b64 s[4:5], 0
.LBB6_41:                               ;   in Loop: Header=BB6_7 Depth=1
	s_andn2_b64 vcc, exec, s[4:5]
	s_cbranch_vccnz .LBB6_48
; %bb.42:                               ;   in Loop: Header=BB6_7 Depth=1
	v_div_scale_f32 v15, s[4:5], s31, s31, v16
	v_div_scale_f32 v17, vcc, v16, s31, v16
	v_rcp_f32_e32 v18, v15
	v_fma_f32 v19, -v15, v18, 1.0
	v_fmac_f32_e32 v18, v19, v18
	v_mul_f32_e32 v19, v17, v18
	v_fma_f32 v20, -v15, v19, v17
	v_fmac_f32_e32 v19, v20, v18
	v_fma_f32 v15, -v15, v19, v17
	v_div_fmas_f32 v15, v15, v18, v19
	ds_read2_b32 v[17:18], v34 offset0:4 offset1:8
	v_div_fixup_f32 v19, v15, s31, v16
	s_and_saveexec_b64 s[4:5], s[0:1]
	s_cbranch_execz .LBB6_44
; %bb.43:                               ;   in Loop: Header=BB6_7 Depth=1
	s_waitcnt lgkmcnt(0)
	v_ashrrev_i32_e32 v16, 31, v18
	v_mov_b32_e32 v15, v18
	v_lshlrev_b64 v[15:16], 2, v[15:16]
	v_mov_b32_e32 v20, s23
	v_add_co_u32_e32 v15, vcc, s22, v15
	v_addc_co_u32_e32 v16, vcc, v20, v16, vcc
	global_load_dword v20, v[15:16], off
	s_waitcnt vmcnt(0)
	v_mul_f32_e32 v20, v19, v20
	global_store_dword v[15:16], v20, off
.LBB6_44:                               ;   in Loop: Header=BB6_7 Depth=1
	s_or_b64 exec, exec, s[4:5]
	s_waitcnt lgkmcnt(0)
	v_add_u32_e32 v15, v17, v0
	v_cmp_lt_i32_e32 vcc, v15, v18
	s_and_saveexec_b64 s[4:5], vcc
	s_cbranch_execz .LBB6_47
; %bb.45:                               ;   in Loop: Header=BB6_7 Depth=1
	v_ashrrev_i32_e32 v16, 31, v15
	v_lshlrev_b64 v[16:17], 2, v[15:16]
	s_mov_b64 s[6:7], 0
.LBB6_46:                               ;   Parent Loop BB6_7 Depth=1
                                        ; =>  This Inner Loop Header: Depth=2
	v_add_co_u32_e32 v20, vcc, s22, v16
	v_mov_b32_e32 v21, s23
	v_addc_co_u32_e32 v21, vcc, v21, v17, vcc
	global_load_dword v22, v[20:21], off
	v_add_u32_e32 v15, s34, v15
	s_waitcnt vmcnt(0)
	v_mul_f32_e32 v22, v19, v22
	global_store_dword v[20:21], v22, off
	v_add_co_u32_e32 v20, vcc, s14, v16
	v_mov_b32_e32 v21, s33
	v_addc_co_u32_e32 v21, vcc, v21, v17, vcc
	global_load_dword v22, v[20:21], off
	v_add_co_u32_e32 v16, vcc, s46, v16
	s_waitcnt vmcnt(0)
	v_mul_f32_e32 v22, v19, v22
	global_store_dword v[20:21], v22, off
	v_mov_b32_e32 v20, s47
	v_addc_co_u32_e32 v17, vcc, v17, v20, vcc
	v_cmp_ge_i32_e32 vcc, v15, v18
	s_or_b64 s[6:7], vcc, s[6:7]
	s_andn2_b64 exec, exec, s[6:7]
	s_cbranch_execnz .LBB6_46
.LBB6_47:                               ;   in Loop: Header=BB6_7 Depth=1
	s_or_b64 exec, exec, s[4:5]
.LBB6_48:                               ;   in Loop: Header=BB6_7 Depth=1
	s_waitcnt vmcnt(0)
	s_barrier
	ds_read2_b32 v[15:16], v34 offset1:5
	ds_read_b32 v18, v34 offset:28
	s_mov_b64 s[6:7], -1
                                        ; implicit-def: $vgpr21_vgpr22
                                        ; implicit-def: $vgpr19_vgpr20
	s_waitcnt lgkmcnt(1)
	v_mov_b32_e32 v17, v16
	s_waitcnt lgkmcnt(0)
	v_cmp_gt_i32_e64 s[4:5], s28, v18
	v_cmp_lt_i32_e32 vcc, v16, v15
	v_cndmask_b32_e64 v16, 0, 1, s[4:5]
	v_cmp_ne_u32_e64 s[4:5], 1, v16
                                        ; implicit-def: $vgpr16
	s_cbranch_vccnz .LBB6_51
; %bb.49:                               ;   in Loop: Header=BB6_7 Depth=1
	v_mov_b32_e32 v22, v6
	v_mov_b32_e32 v20, v4
	s_and_b64 vcc, exec, s[4:5]
	v_mov_b32_e32 v21, v5
	v_mov_b32_e32 v19, v3
	;; [unrolled: 1-line block ×6, first 2 shown]
	s_cbranch_vccz .LBB6_55
.LBB6_50:                               ;   in Loop: Header=BB6_7 Depth=1
	s_mov_b64 s[6:7], 0
.LBB6_51:                               ;   in Loop: Header=BB6_7 Depth=1
	s_andn2_b64 vcc, exec, s[6:7]
	s_cbranch_vccnz .LBB6_209
; %bb.52:                               ;   in Loop: Header=BB6_7 Depth=1
	s_and_b64 vcc, exec, s[4:5]
	s_cbranch_vccz .LBB6_133
	s_branch .LBB6_210
.LBB6_53:                               ;   in Loop: Header=BB6_55 Depth=2
	s_or_b64 exec, exec, s[8:9]
	s_waitcnt vmcnt(0)
	s_barrier
	ds_read_b32 v23, v34
.LBB6_54:                               ;   in Loop: Header=BB6_55 Depth=2
	ds_read2_b32 v[30:31], v34 offset0:5 offset1:7
	s_waitcnt lgkmcnt(0)
	v_cmp_le_i32_e32 vcc, v23, v30
	v_cmp_gt_i32_e64 s[6:7], s28, v31
	s_and_b64 s[6:7], vcc, s[6:7]
	s_andn2_b64 vcc, exec, s[6:7]
	s_cbranch_vccnz .LBB6_50
.LBB6_55:                               ;   Parent Loop BB6_7 Depth=1
                                        ; =>  This Loop Header: Depth=2
                                        ;       Child Loop BB6_61 Depth 3
                                        ;       Child Loop BB6_81 Depth 3
	;; [unrolled: 1-line block ×3, first 2 shown]
                                        ;         Child Loop BB6_129 Depth 4
	s_and_saveexec_b64 s[62:63], s[0:1]
	s_cbranch_execz .LBB6_124
; %bb.56:                               ;   in Loop: Header=BB6_55 Depth=2
	v_cmp_lt_i32_e32 vcc, v23, v30
	s_mov_b64 s[6:7], 0
	s_cbranch_vccnz .LBB6_58
; %bb.57:                               ;   in Loop: Header=BB6_55 Depth=2
	v_ashrrev_i32_e32 v24, 31, v23
	v_mov_b32_e32 v25, v24
	s_mov_b64 s[8:9], -1
	v_mov_b32_e32 v24, v23
	v_mov_b32_e32 v26, v23
	s_cbranch_execz .LBB6_59
	s_branch .LBB6_64
.LBB6_58:                               ;   in Loop: Header=BB6_55 Depth=2
                                        ; implicit-def: $vgpr24_vgpr25
	s_mov_b64 s[8:9], 0
	v_mov_b32_e32 v26, v23
.LBB6_59:                               ;   in Loop: Header=BB6_55 Depth=2
	v_ashrrev_i32_e32 v24, 31, v23
	v_lshlrev_b64 v[19:20], 2, v[23:24]
	v_mov_b32_e32 v16, s33
	v_add_co_u32_e32 v25, vcc, s14, v19
	v_addc_co_u32_e32 v26, vcc, v16, v20, vcc
	v_mov_b32_e32 v16, s91
	v_add_co_u32_e32 v21, vcc, s90, v19
	v_addc_co_u32_e32 v22, vcc, v16, v20, vcc
	v_mov_b32_e32 v27, v23
	s_branch .LBB6_61
.LBB6_60:                               ;   in Loop: Header=BB6_61 Depth=3
	v_add_co_u32_e32 v25, vcc, 4, v19
	v_addc_co_u32_e32 v26, vcc, 0, v20, vcc
	v_add_u32_e32 v27, 1, v16
	v_add_co_u32_e32 v21, vcc, 4, v21
	v_addc_co_u32_e32 v22, vcc, 0, v22, vcc
	s_mov_b64 s[6:7], 0
	v_cmp_ge_i32_e64 s[8:9], v27, v30
	s_andn2_b64 vcc, exec, s[8:9]
	s_cbranch_vccz .LBB6_63
.LBB6_61:                               ;   Parent Loop BB6_7 Depth=1
                                        ;     Parent Loop BB6_55 Depth=2
                                        ; =>    This Inner Loop Header: Depth=3
	v_mov_b32_e32 v19, v25
	v_mov_b32_e32 v20, v26
	global_load_dwordx2 v[25:26], v[21:22], off
	global_load_dword v28, v[19:20], off
	v_mov_b32_e32 v16, v27
	s_waitcnt vmcnt(1)
	v_mul_f32_e32 v25, v25, v26
	s_waitcnt vmcnt(0)
	v_mul_f32_e32 v26, v28, v28
	v_mul_f32_e64 v25, v35, |v25|
	v_cmp_le_f32_e64 s[6:7], |v26|, v25
	s_and_b64 vcc, exec, s[6:7]
	s_cbranch_vccz .LBB6_60
; %bb.62:                               ;   in Loop: Header=BB6_55 Depth=2
	s_mov_b64 s[6:7], -1
                                        ; implicit-def: $vgpr27
                                        ; implicit-def: $vgpr25_vgpr26
                                        ; implicit-def: $vgpr21_vgpr22
.LBB6_63:                               ;   in Loop: Header=BB6_55 Depth=2
	v_mov_b32_e32 v21, v23
	v_mov_b32_e32 v22, v24
	;; [unrolled: 1-line block ×3, first 2 shown]
	s_xor_b64 s[8:9], s[6:7], -1
	s_mov_b64 s[6:7], -1
	v_mov_b32_e32 v26, v30
	v_mov_b32_e32 v24, v23
.LBB6_64:                               ;   in Loop: Header=BB6_55 Depth=2
	s_and_b64 vcc, exec, s[8:9]
	s_cbranch_vccnz .LBB6_93
; %bb.65:                               ;   in Loop: Header=BB6_55 Depth=2
	s_andn2_b64 vcc, exec, s[6:7]
	s_cbranch_vccnz .LBB6_67
.LBB6_66:                               ;   in Loop: Header=BB6_55 Depth=2
	v_mov_b32_e32 v25, v22
	v_mov_b32_e32 v24, v21
	;; [unrolled: 1-line block ×3, first 2 shown]
	ds_write2_b32 v34, v16, v23 offset0:1 offset1:4
	global_store_dword v[19:20], v34, off
.LBB6_67:                               ;   in Loop: Header=BB6_55 Depth=2
	v_lshlrev_b64 v[27:28], 2, v[24:25]
	v_mov_b32_e32 v25, s23
	v_add_co_u32_e32 v24, vcc, s22, v27
	v_addc_co_u32_e32 v25, vcc, v25, v28, vcc
	global_load_dword v43, v[24:25], off
	v_cmp_ne_u32_e32 vcc, v26, v23
	v_add_u32_e32 v29, 1, v23
	s_waitcnt vmcnt(0)
	ds_write_b32 v34, v43 offset:8
	s_and_saveexec_b64 s[6:7], vcc
	s_xor_b64 s[64:65], exec, s[6:7]
	s_cbranch_execz .LBB6_121
; %bb.68:                               ;   in Loop: Header=BB6_55 Depth=2
	v_cmp_ne_u32_e32 vcc, v26, v29
	s_and_saveexec_b64 s[6:7], vcc
	s_xor_b64 s[8:9], exec, s[6:7]
	s_cbranch_execz .LBB6_97
; %bb.69:                               ;   in Loop: Header=BB6_55 Depth=2
	v_mov_b32_e32 v30, s33
	v_add_co_u32_e32 v29, vcc, s14, v27
	v_addc_co_u32_e32 v30, vcc, v30, v28, vcc
	global_load_dword v32, v[24:25], off offset:4
	global_load_dword v44, v[29:30], off
	v_ashrrev_i32_e32 v27, 31, v26
	v_mov_b32_e32 v48, s23
	v_add_u32_e32 v31, 1, v31
	ds_write2_b32 v34, v34, v31 offset0:2 offset1:7
	s_waitcnt vmcnt(1)
	v_sub_f32_e32 v42, v32, v43
	s_waitcnt vmcnt(0)
	v_add_f32_e32 v46, v44, v44
	v_div_scale_f32 v28, s[6:7], v46, v46, v42
	v_div_scale_f32 v45, vcc, v42, v46, v42
	v_lshlrev_b64 v[32:33], 2, v[26:27]
	v_rcp_f32_e32 v47, v28
	v_fma_f32 v27, -v28, v47, 1.0
	v_fmac_f32_e32 v47, v27, v47
	v_mul_f32_e32 v27, v45, v47
	v_fma_f32 v49, -v28, v27, v45
	v_fmac_f32_e32 v27, v49, v47
	v_fma_f32 v28, -v28, v27, v45
	v_div_fmas_f32 v47, v28, v47, v27
	v_add_co_u32_e32 v27, vcc, s22, v32
	v_addc_co_u32_e32 v28, vcc, v48, v33, vcc
	global_load_dword v45, v[27:28], off
	v_div_fixup_f32 v42, v47, v46, v42
	v_fma_f32 v46, v42, v42, 1.0
	v_mul_f32_e32 v47, 0x4f800000, v46
	v_cmp_gt_f32_e32 vcc, s50, v46
	v_cndmask_b32_e32 v46, v46, v47, vcc
	v_sqrt_f32_e32 v47, v46
	v_add_u32_e32 v48, -1, v47
	v_add_u32_e32 v49, 1, v47
	v_fma_f32 v50, -v48, v47, v46
	v_fma_f32 v51, -v49, v47, v46
	v_cmp_ge_f32_e64 s[6:7], 0, v50
	v_cndmask_b32_e64 v47, v47, v48, s[6:7]
	v_cmp_lt_f32_e64 s[6:7], 0, v51
	v_cndmask_b32_e64 v47, v47, v49, s[6:7]
	v_mul_f32_e32 v48, 0x37800000, v47
	v_cndmask_b32_e32 v47, v47, v48, vcc
	v_cmp_class_f32_e32 vcc, v46, v38
	v_cndmask_b32_e32 v46, v47, v46, vcc
	v_cmp_nle_f32_e32 vcc, 0, v42
	v_cndmask_b32_e64 v46, |v46|, -|v46|, vcc
	v_add_f32_e32 v46, v42, v46
	v_div_scale_f32 v42, s[6:7], v46, v46, v44
	v_div_scale_f32 v47, vcc, v44, v46, v44
	v_rcp_f32_e32 v48, v42
	v_fma_f32 v49, -v42, v48, 1.0
	v_fmac_f32_e32 v48, v49, v48
	v_mul_f32_e32 v49, v47, v48
	v_fma_f32 v50, -v42, v49, v47
	v_fmac_f32_e32 v49, v50, v48
	v_fma_f32 v42, -v42, v49, v47
	v_div_fmas_f32 v47, v42, v48, v49
	v_mov_b32_e32 v42, 0
	v_cmp_gt_i32_e32 vcc, v26, v23
	v_div_fixup_f32 v44, v47, v46, v44
	s_waitcnt vmcnt(0)
	v_sub_f32_e32 v31, v45, v43
	v_add_f32_e32 v44, v31, v44
	s_and_saveexec_b64 s[66:67], vcc
	s_cbranch_execz .LBB6_96
; %bb.70:                               ;   in Loop: Header=BB6_55 Depth=2
	v_mov_b32_e32 v31, s33
	v_add_co_u32_e32 v42, vcc, s14, v32
	v_addc_co_u32_e32 v43, vcc, v31, v33, vcc
	global_load_dword v46, v[42:43], off offset:-4
	v_mov_b32_e32 v47, 0
	v_mov_b32_e32 v43, 1.0
	s_waitcnt vmcnt(0)
	v_cmp_neq_f32_e32 vcc, 0, v46
	s_and_saveexec_b64 s[68:69], vcc
	s_cbranch_execz .LBB6_78
; %bb.71:                               ;   in Loop: Header=BB6_55 Depth=2
	v_mov_b32_e32 v43, 0
	v_cmp_neq_f32_e32 vcc, 0, v44
	v_mov_b32_e32 v47, 1.0
	s_and_saveexec_b64 s[70:71], vcc
	s_cbranch_execz .LBB6_77
; %bb.72:                               ;   in Loop: Header=BB6_55 Depth=2
	v_cmp_ngt_f32_e64 s[6:7], |v46|, |v44|
                                        ; implicit-def: $vgpr47
                                        ; implicit-def: $vgpr43
	s_and_saveexec_b64 s[72:73], s[6:7]
	s_xor_b64 s[72:73], exec, s[72:73]
	s_cbranch_execz .LBB6_74
; %bb.73:                               ;   in Loop: Header=BB6_55 Depth=2
	v_div_scale_f32 v31, s[6:7], v44, v44, -v46
	v_div_scale_f32 v42, vcc, -v46, v44, -v46
	v_rcp_f32_e32 v43, v31
	v_fma_f32 v47, -v31, v43, 1.0
	v_fmac_f32_e32 v43, v47, v43
	v_mul_f32_e32 v47, v42, v43
	v_fma_f32 v48, -v31, v47, v42
	v_fmac_f32_e32 v47, v48, v43
	v_fma_f32 v31, -v31, v47, v42
	v_div_fmas_f32 v31, v31, v43, v47
	v_div_fixup_f32 v31, v31, v44, -v46
	v_fma_f32 v42, v31, v31, 1.0
	v_mul_f32_e32 v43, 0x4f800000, v42
	v_cmp_gt_f32_e32 vcc, s50, v42
	v_cndmask_b32_e32 v42, v42, v43, vcc
	v_sqrt_f32_e32 v43, v42
	v_add_u32_e32 v44, -1, v43
	v_add_u32_e32 v47, 1, v43
	v_fma_f32 v48, -v44, v43, v42
	v_fma_f32 v49, -v47, v43, v42
	v_cmp_ge_f32_e64 s[6:7], 0, v48
	v_cndmask_b32_e64 v43, v43, v44, s[6:7]
	v_cmp_lt_f32_e64 s[6:7], 0, v49
	v_cndmask_b32_e64 v43, v43, v47, s[6:7]
	v_mul_f32_e32 v44, 0x37800000, v43
	v_cndmask_b32_e32 v43, v43, v44, vcc
	v_cmp_class_f32_e32 vcc, v42, v38
	v_cndmask_b32_e32 v42, v43, v42, vcc
	v_div_scale_f32 v43, s[6:7], v42, v42, 1.0
	v_div_scale_f32 v44, vcc, 1.0, v42, 1.0
	v_rcp_f32_e32 v47, v43
	v_fma_f32 v48, -v43, v47, 1.0
	v_fmac_f32_e32 v47, v48, v47
	v_mul_f32_e32 v48, v44, v47
	v_fma_f32 v49, -v43, v48, v44
	v_fmac_f32_e32 v48, v49, v47
	v_fma_f32 v43, -v43, v48, v44
	v_div_fmas_f32 v43, v43, v47, v48
                                        ; implicit-def: $vgpr44
	v_div_fixup_f32 v43, v43, v42, 1.0
	v_mul_f32_e32 v47, v31, v43
.LBB6_74:                               ;   in Loop: Header=BB6_55 Depth=2
	s_andn2_saveexec_b64 s[72:73], s[72:73]
	s_cbranch_execz .LBB6_76
; %bb.75:                               ;   in Loop: Header=BB6_55 Depth=2
	v_div_scale_f32 v31, s[6:7], v46, v46, -v44
	v_div_scale_f32 v42, vcc, -v44, v46, -v44
	v_rcp_f32_e32 v43, v31
	v_fma_f32 v47, -v31, v43, 1.0
	v_fmac_f32_e32 v43, v47, v43
	v_mul_f32_e32 v47, v42, v43
	v_fma_f32 v48, -v31, v47, v42
	v_fmac_f32_e32 v47, v48, v43
	v_fma_f32 v31, -v31, v47, v42
	v_div_fmas_f32 v31, v31, v43, v47
	v_div_fixup_f32 v31, v31, v46, -v44
	v_fma_f32 v42, v31, v31, 1.0
	v_mul_f32_e32 v43, 0x4f800000, v42
	v_cmp_gt_f32_e32 vcc, s50, v42
	v_cndmask_b32_e32 v42, v42, v43, vcc
	v_sqrt_f32_e32 v43, v42
	v_add_u32_e32 v44, -1, v43
	v_add_u32_e32 v47, 1, v43
	v_fma_f32 v48, -v44, v43, v42
	v_fma_f32 v49, -v47, v43, v42
	v_cmp_ge_f32_e64 s[6:7], 0, v48
	v_cndmask_b32_e64 v43, v43, v44, s[6:7]
	v_cmp_lt_f32_e64 s[6:7], 0, v49
	v_cndmask_b32_e64 v43, v43, v47, s[6:7]
	v_mul_f32_e32 v44, 0x37800000, v43
	v_cndmask_b32_e32 v43, v43, v44, vcc
	v_cmp_class_f32_e32 vcc, v42, v38
	v_cndmask_b32_e32 v42, v43, v42, vcc
	v_div_scale_f32 v43, s[6:7], v42, v42, 1.0
	v_div_scale_f32 v44, vcc, 1.0, v42, 1.0
	v_rcp_f32_e32 v47, v43
	v_fma_f32 v48, -v43, v47, 1.0
	v_fmac_f32_e32 v47, v48, v47
	v_mul_f32_e32 v48, v44, v47
	v_fma_f32 v49, -v43, v48, v44
	v_fmac_f32_e32 v48, v49, v47
	v_fma_f32 v43, -v43, v48, v44
	v_div_fmas_f32 v43, v43, v47, v48
	v_div_fixup_f32 v47, v43, v42, 1.0
	v_mul_f32_e32 v43, v31, v47
.LBB6_76:                               ;   in Loop: Header=BB6_55 Depth=2
	s_or_b64 exec, exec, s[72:73]
.LBB6_77:                               ;   in Loop: Header=BB6_55 Depth=2
	s_or_b64 exec, exec, s[70:71]
.LBB6_78:                               ;   in Loop: Header=BB6_55 Depth=2
	s_or_b64 exec, exec, s[68:69]
	global_load_dword v42, v[27:28], off offset:-4
	v_mov_b32_e32 v48, s89
	v_add_co_u32_e32 v32, vcc, s88, v32
	v_addc_co_u32_e32 v33, vcc, v48, v33, vcc
	v_add_co_u32_e32 v48, vcc, -4, v32
	v_addc_co_u32_e32 v50, vcc, -1, v33, vcc
	v_add_f32_e32 v44, v43, v43
	v_mov_b32_e32 v49, s49
	v_add_co_u32_e32 v48, vcc, s48, v48
	v_add_u32_e32 v31, -1, v26
	v_addc_co_u32_e32 v49, vcc, v50, v49, vcc
	v_cmp_gt_i32_e32 vcc, v31, v23
	s_waitcnt vmcnt(0)
	v_sub_f32_e32 v42, v42, v45
	v_mul_f32_e32 v42, v47, v42
	v_fma_f32 v44, v46, v44, -v42
	v_mul_f32_e64 v42, v44, -v47
	v_fma_f32 v45, v44, -v47, v45
	v_fma_f32 v44, v43, v44, -v46
	ds_write_b32 v34, v42 offset:8
	global_store_dword v[27:28], v45, off
	global_store_dword v[32:33], v43, off offset:-4
	global_store_dword v[48:49], v47, off offset:-4
	s_and_saveexec_b64 s[68:69], vcc
	s_cbranch_execz .LBB6_95
; %bb.79:                               ;   in Loop: Header=BB6_55 Depth=2
	v_ashrrev_i32_e32 v32, 31, v31
	v_lshlrev_b64 v[27:28], 2, v[31:32]
	v_readlane_b32 s78, v60, 0
	v_xor_b32_e32 v45, 0x80000000, v47
	s_mov_b32 s41, -1
	s_mov_b64 s[70:71], 0
	s_mov_b64 s[72:73], s[54:55]
	;; [unrolled: 1-line block ×4, first 2 shown]
	v_readlane_b32 s79, v60, 1
	s_branch .LBB6_81
.LBB6_80:                               ;   in Loop: Header=BB6_81 Depth=3
	v_mov_b32_e32 v32, s75
	v_add_co_u32_e32 v31, vcc, s74, v27
	v_addc_co_u32_e32 v32, vcc, v32, v28, vcc
	global_load_dwordx2 v[48:49], v[31:32], off offset:-4
	v_add_co_u32_e32 v50, vcc, s78, v27
	s_add_u32 s78, s78, -4
	v_mov_b32_e32 v51, s79
	s_addc_u32 s79, s79, -1
	v_add_co_u32_e64 v52, s[6:7], s76, v27
	s_add_u32 s76, s76, -4
	v_mov_b32_e32 v44, s77
	s_addc_u32 s77, s77, -1
	s_add_i32 s41, s41, -1
	v_addc_co_u32_e64 v53, s[6:7], v44, v28, s[6:7]
	v_addc_co_u32_e32 v51, vcc, v51, v28, vcc
	v_add_u32_e32 v44, s41, v26
	s_add_u32 s74, s74, -4
	v_cmp_le_i32_e32 vcc, v44, v23
	s_addc_u32 s75, s75, -1
	v_mul_f32_e32 v33, v43, v33
	v_add_f32_e32 v43, v46, v46
	s_add_u32 s72, s72, -4
	s_addc_u32 s73, s73, -1
	v_xor_b32_e32 v45, 0x80000000, v47
	s_or_b64 s[70:71], vcc, s[70:71]
	s_waitcnt vmcnt(0)
	v_sub_f32_e32 v44, v49, v42
	v_sub_f32_e32 v42, v48, v44
	v_mul_f32_e32 v42, v47, v42
	v_fma_f32 v43, v33, v43, -v42
	v_mul_f32_e64 v42, v43, -v47
	v_fma_f32 v48, v43, -v47, v44
	v_fma_f32 v44, v46, v43, -v33
	v_mov_b32_e32 v43, v46
	global_store_dword v[31:32], v48, off
	global_store_dword v[52:53], v46, off
	;; [unrolled: 1-line block ×3, first 2 shown]
	s_andn2_b64 exec, exec, s[70:71]
	s_cbranch_execz .LBB6_94
.LBB6_81:                               ;   Parent Loop BB6_7 Depth=1
                                        ;     Parent Loop BB6_55 Depth=2
                                        ; =>    This Inner Loop Header: Depth=3
	v_mov_b32_e32 v32, s73
	v_add_co_u32_e32 v31, vcc, s72, v27
	v_addc_co_u32_e32 v32, vcc, v32, v28, vcc
	global_load_dword v33, v[31:32], off
	v_mov_b32_e32 v47, 0
	v_mov_b32_e32 v46, 1.0
	s_waitcnt vmcnt(0)
	v_mul_f32_e32 v45, v45, v33
	v_cmp_neq_f32_e32 vcc, 0, v45
	s_and_saveexec_b64 s[80:81], vcc
	s_cbranch_execz .LBB6_91
; %bb.82:                               ;   in Loop: Header=BB6_81 Depth=3
	v_cmp_neq_f32_e32 vcc, 0, v44
	v_xor_b32_e32 v48, 0x80000000, v45
                                        ; implicit-def: $vgpr47
                                        ; implicit-def: $vgpr46
	s_and_saveexec_b64 s[6:7], vcc
	s_xor_b64 s[82:83], exec, s[6:7]
	s_cbranch_execz .LBB6_88
; %bb.83:                               ;   in Loop: Header=BB6_81 Depth=3
	v_cmp_ngt_f32_e64 s[6:7], |v45|, |v44|
                                        ; implicit-def: $vgpr47
                                        ; implicit-def: $vgpr46
	s_and_saveexec_b64 s[84:85], s[6:7]
	s_xor_b64 s[84:85], exec, s[84:85]
	s_cbranch_execz .LBB6_85
; %bb.84:                               ;   in Loop: Header=BB6_81 Depth=3
	v_div_scale_f32 v46, s[6:7], v44, v44, -v45
	v_div_scale_f32 v47, vcc, -v45, v44, -v45
	v_rcp_f32_e32 v48, v46
	v_fma_f32 v49, -v46, v48, 1.0
	v_fmac_f32_e32 v48, v49, v48
	v_mul_f32_e32 v49, v47, v48
	v_fma_f32 v50, -v46, v49, v47
	v_fmac_f32_e32 v49, v50, v48
	v_fma_f32 v46, -v46, v49, v47
	v_div_fmas_f32 v46, v46, v48, v49
	v_div_fixup_f32 v47, v46, v44, -v45
	v_fma_f32 v46, v47, v47, 1.0
	v_mul_f32_e32 v48, 0x4f800000, v46
	v_cmp_gt_f32_e32 vcc, s50, v46
	v_cndmask_b32_e32 v46, v46, v48, vcc
	v_sqrt_f32_e32 v48, v46
	v_add_u32_e32 v49, -1, v48
	v_add_u32_e32 v50, 1, v48
	v_fma_f32 v51, -v49, v48, v46
	v_fma_f32 v52, -v50, v48, v46
	v_cmp_ge_f32_e64 s[6:7], 0, v51
	v_cndmask_b32_e64 v48, v48, v49, s[6:7]
	v_cmp_lt_f32_e64 s[6:7], 0, v52
	v_cndmask_b32_e64 v48, v48, v50, s[6:7]
	v_mul_f32_e32 v49, 0x37800000, v48
	v_cndmask_b32_e32 v48, v48, v49, vcc
	v_cmp_class_f32_e32 vcc, v46, v38
	v_cndmask_b32_e32 v46, v48, v46, vcc
	v_div_scale_f32 v48, s[6:7], v46, v46, 1.0
	v_div_scale_f32 v49, vcc, 1.0, v46, 1.0
	v_rcp_f32_e32 v50, v48
	v_fma_f32 v51, -v48, v50, 1.0
	v_fmac_f32_e32 v50, v51, v50
	v_mul_f32_e32 v51, v49, v50
	v_fma_f32 v52, -v48, v51, v49
	v_fmac_f32_e32 v51, v52, v50
	v_fma_f32 v48, -v48, v51, v49
	v_div_fmas_f32 v48, v48, v50, v51
	v_div_fixup_f32 v46, v48, v46, 1.0
	v_mul_f32_e32 v47, v47, v46
.LBB6_85:                               ;   in Loop: Header=BB6_81 Depth=3
	s_andn2_saveexec_b64 s[84:85], s[84:85]
	s_cbranch_execz .LBB6_87
; %bb.86:                               ;   in Loop: Header=BB6_81 Depth=3
	v_div_scale_f32 v46, s[6:7], v45, v45, -v44
	v_div_scale_f32 v47, vcc, -v44, v45, -v44
	v_rcp_f32_e32 v48, v46
	v_fma_f32 v49, -v46, v48, 1.0
	v_fmac_f32_e32 v48, v49, v48
	v_mul_f32_e32 v49, v47, v48
	v_fma_f32 v50, -v46, v49, v47
	v_fmac_f32_e32 v49, v50, v48
	v_fma_f32 v46, -v46, v49, v47
	v_div_fmas_f32 v46, v46, v48, v49
	v_div_fixup_f32 v46, v46, v45, -v44
	v_fma_f32 v47, v46, v46, 1.0
	v_mul_f32_e32 v48, 0x4f800000, v47
	v_cmp_gt_f32_e32 vcc, s50, v47
	v_cndmask_b32_e32 v47, v47, v48, vcc
	v_sqrt_f32_e32 v48, v47
	v_add_u32_e32 v49, -1, v48
	v_add_u32_e32 v50, 1, v48
	v_fma_f32 v51, -v49, v48, v47
	v_fma_f32 v52, -v50, v48, v47
	v_cmp_ge_f32_e64 s[6:7], 0, v51
	v_cndmask_b32_e64 v48, v48, v49, s[6:7]
	v_cmp_lt_f32_e64 s[6:7], 0, v52
	v_cndmask_b32_e64 v48, v48, v50, s[6:7]
	v_mul_f32_e32 v49, 0x37800000, v48
	v_cndmask_b32_e32 v48, v48, v49, vcc
	v_cmp_class_f32_e32 vcc, v47, v38
	v_cndmask_b32_e32 v47, v48, v47, vcc
	v_div_scale_f32 v48, s[6:7], v47, v47, 1.0
	v_div_scale_f32 v49, vcc, 1.0, v47, 1.0
	v_rcp_f32_e32 v50, v48
	v_fma_f32 v51, -v48, v50, 1.0
	v_fmac_f32_e32 v50, v51, v50
	v_mul_f32_e32 v51, v49, v50
	v_fma_f32 v52, -v48, v51, v49
	v_fmac_f32_e32 v51, v52, v50
	v_fma_f32 v48, -v48, v51, v49
	v_div_fmas_f32 v48, v48, v50, v51
	v_div_fixup_f32 v47, v48, v47, 1.0
	v_mul_f32_e32 v46, v46, v47
.LBB6_87:                               ;   in Loop: Header=BB6_81 Depth=3
	s_or_b64 exec, exec, s[84:85]
	v_mul_f32_e32 v45, v45, v47
	v_fma_f32 v48, v44, v46, -v45
.LBB6_88:                               ;   in Loop: Header=BB6_81 Depth=3
	s_andn2_saveexec_b64 s[6:7], s[82:83]
; %bb.89:                               ;   in Loop: Header=BB6_81 Depth=3
	v_mov_b32_e32 v46, 0
	v_mov_b32_e32 v47, 1.0
; %bb.90:                               ;   in Loop: Header=BB6_81 Depth=3
	s_or_b64 exec, exec, s[6:7]
	v_mov_b32_e32 v44, v48
.LBB6_91:                               ;   in Loop: Header=BB6_81 Depth=3
	s_or_b64 exec, exec, s[80:81]
	s_cmp_eq_u32 s41, 0
	s_cbranch_scc1 .LBB6_80
; %bb.92:                               ;   in Loop: Header=BB6_81 Depth=3
	global_store_dword v[31:32], v44, off offset:4
	s_branch .LBB6_80
.LBB6_93:                               ;   in Loop: Header=BB6_55 Depth=2
	ds_write2_b32 v34, v26, v23 offset0:1 offset1:4
	s_cbranch_execz .LBB6_66
	s_branch .LBB6_67
.LBB6_94:                               ;   in Loop: Header=BB6_55 Depth=2
	s_or_b64 exec, exec, s[70:71]
	s_mov_b32 s76, 0x667f3bcd
	s_mov_b32 s77, 0x3ff6a09e
	ds_write_b32 v34, v42 offset:8
.LBB6_95:                               ;   in Loop: Header=BB6_55 Depth=2
	s_or_b64 exec, exec, s[68:69]
	global_load_dword v43, v[24:25], off
.LBB6_96:                               ;   in Loop: Header=BB6_55 Depth=2
	s_or_b64 exec, exec, s[66:67]
	s_waitcnt vmcnt(0)
	v_sub_f32_e32 v23, v43, v42
	global_store_dword v[24:25], v23, off
	global_store_dword v[29:30], v44, off
                                        ; implicit-def: $vgpr27_vgpr28
                                        ; implicit-def: $vgpr24_vgpr25
                                        ; implicit-def: $vgpr23
                                        ; implicit-def: $vgpr43
.LBB6_97:                               ;   in Loop: Header=BB6_55 Depth=2
	s_andn2_saveexec_b64 s[66:67], s[8:9]
	s_cbranch_execz .LBB6_130
; %bb.98:                               ;   in Loop: Header=BB6_55 Depth=2
	v_mov_b32_e32 v26, s33
	v_add_co_u32_e32 v29, vcc, s14, v27
	v_addc_co_u32_e32 v30, vcc, v26, v28, vcc
	global_load_dword v31, v[24:25], off offset:4
	global_load_dword v44, v[29:30], off
                                        ; implicit-def: $vgpr42
	s_waitcnt vmcnt(1)
	v_sub_f32_e32 v33, v43, v31
	s_waitcnt vmcnt(0)
	v_add_f32_e32 v26, v44, v44
	v_and_b32_e32 v32, 0x7fffffff, v26
	v_cmp_ngt_f32_e64 s[6:7], |v33|, |v26|
	s_and_saveexec_b64 s[8:9], s[6:7]
	s_xor_b64 s[8:9], exec, s[8:9]
	s_cbranch_execz .LBB6_104
; %bb.99:                               ;   in Loop: Header=BB6_55 Depth=2
	v_cmp_nlt_f32_e64 s[6:7], |v33|, |v26|
                                        ; implicit-def: $vgpr42
	s_and_saveexec_b64 s[68:69], s[6:7]
	s_xor_b64 s[6:7], exec, s[68:69]
	s_cbranch_execz .LBB6_101
; %bb.100:                              ;   in Loop: Header=BB6_55 Depth=2
	v_cvt_f64_f32_e32 v[45:46], v32
                                        ; implicit-def: $vgpr32
	v_mul_f64 v[45:46], v[45:46], s[76:77]
	v_cvt_f32_f64_e32 v42, v[45:46]
.LBB6_101:                              ;   in Loop: Header=BB6_55 Depth=2
	s_andn2_saveexec_b64 s[68:69], s[6:7]
	s_cbranch_execz .LBB6_103
; %bb.102:                              ;   in Loop: Header=BB6_55 Depth=2
	v_and_b32_e32 v42, 0x7fffffff, v33
	v_div_scale_f32 v45, s[6:7], v32, v32, v42
	v_div_scale_f32 v32, vcc, v42, v32, v42
	v_rcp_f32_e32 v46, v45
	v_fma_f32 v47, -v45, v46, 1.0
	v_fmac_f32_e32 v46, v47, v46
	v_mul_f32_e32 v42, v32, v46
	v_fma_f32 v47, -v45, v42, v32
	v_fmac_f32_e32 v42, v47, v46
	v_fma_f32 v32, -v45, v42, v32
	v_div_fmas_f32 v32, v32, v46, v42
	v_div_fixup_f32 v32, v32, |v26|, |v33|
	v_fma_f32 v32, v32, v32, 1.0
	v_cmp_gt_f32_e32 vcc, s50, v32
	v_mul_f32_e32 v42, 0x4f800000, v32
	v_cndmask_b32_e32 v32, v32, v42, vcc
	v_sqrt_f32_e32 v42, v32
	v_add_u32_e32 v45, -1, v42
	v_fma_f32 v46, -v45, v42, v32
	v_cmp_ge_f32_e64 s[6:7], 0, v46
	v_add_u32_e32 v46, 1, v42
	v_cndmask_b32_e64 v45, v42, v45, s[6:7]
	v_fma_f32 v42, -v46, v42, v32
	v_cmp_lt_f32_e64 s[6:7], 0, v42
	v_cndmask_b32_e64 v42, v45, v46, s[6:7]
	v_mul_f32_e32 v45, 0x37800000, v42
	v_cndmask_b32_e32 v42, v42, v45, vcc
	v_cmp_class_f32_e32 vcc, v32, v38
	v_cndmask_b32_e32 v32, v42, v32, vcc
	v_mul_f32_e64 v42, |v26|, v32
.LBB6_103:                              ;   in Loop: Header=BB6_55 Depth=2
	s_or_b64 exec, exec, s[68:69]
                                        ; implicit-def: $vgpr32
.LBB6_104:                              ;   in Loop: Header=BB6_55 Depth=2
	s_andn2_saveexec_b64 s[8:9], s[8:9]
	s_cbranch_execz .LBB6_106
; %bb.105:                              ;   in Loop: Header=BB6_55 Depth=2
	v_and_b32_e32 v42, 0x7fffffff, v33
	v_div_scale_f32 v45, s[6:7], v42, v42, v32
	v_div_scale_f32 v32, vcc, v32, v42, v32
	v_rcp_f32_e32 v46, v45
	v_fma_f32 v47, -v45, v46, 1.0
	v_fmac_f32_e32 v46, v47, v46
	v_mul_f32_e32 v42, v32, v46
	v_fma_f32 v47, -v45, v42, v32
	v_fmac_f32_e32 v42, v47, v46
	v_fma_f32 v32, -v45, v42, v32
	v_div_fmas_f32 v32, v32, v46, v42
	v_div_fixup_f32 v32, v32, |v33|, |v26|
	v_fma_f32 v32, v32, v32, 1.0
	v_cmp_gt_f32_e32 vcc, s50, v32
	v_mul_f32_e32 v42, 0x4f800000, v32
	v_cndmask_b32_e32 v32, v32, v42, vcc
	v_sqrt_f32_e32 v42, v32
	v_add_u32_e32 v45, -1, v42
	v_fma_f32 v46, -v45, v42, v32
	v_cmp_ge_f32_e64 s[6:7], 0, v46
	v_add_u32_e32 v46, 1, v42
	v_cndmask_b32_e64 v45, v42, v45, s[6:7]
	v_fma_f32 v42, -v46, v42, v32
	v_cmp_lt_f32_e64 s[6:7], 0, v42
	v_cndmask_b32_e64 v42, v45, v46, s[6:7]
	v_mul_f32_e32 v45, 0x37800000, v42
	v_cndmask_b32_e32 v42, v42, v45, vcc
	v_cmp_class_f32_e32 vcc, v32, v38
	v_cndmask_b32_e32 v32, v42, v32, vcc
	v_mul_f32_e64 v42, |v33|, v32
.LBB6_106:                              ;   in Loop: Header=BB6_55 Depth=2
	s_or_b64 exec, exec, s[8:9]
	v_add_f32_e32 v46, v43, v31
	v_cmp_gt_f32_e64 vcc, |v43|, |v31|
	v_cndmask_b32_e32 v45, v43, v31, vcc
	v_cndmask_b32_e32 v47, v31, v43, vcc
	v_cmp_ngt_f32_e32 vcc, 0, v46
                                        ; implicit-def: $vgpr32
	s_and_saveexec_b64 s[6:7], vcc
	s_xor_b64 s[6:7], exec, s[6:7]
	s_cbranch_execz .LBB6_112
; %bb.107:                              ;   in Loop: Header=BB6_55 Depth=2
	v_cmp_nlt_f32_e32 vcc, 0, v46
                                        ; implicit-def: $vgpr32
	s_and_saveexec_b64 s[8:9], vcc
	s_xor_b64 s[8:9], exec, s[8:9]
; %bb.108:                              ;   in Loop: Header=BB6_55 Depth=2
	v_mul_f32_e32 v31, 0.5, v42
	v_mul_f32_e32 v32, -0.5, v42
                                        ; implicit-def: $vgpr46
                                        ; implicit-def: $vgpr47
                                        ; implicit-def: $vgpr45
                                        ; implicit-def: $vgpr44
; %bb.109:                              ;   in Loop: Header=BB6_55 Depth=2
	s_andn2_saveexec_b64 s[8:9], s[8:9]
	s_cbranch_execz .LBB6_111
; %bb.110:                              ;   in Loop: Header=BB6_55 Depth=2
	v_add_f32_e32 v31, v46, v42
	v_mul_f32_e32 v31, 0.5, v31
	v_cvt_f64_f32_e32 v[46:47], v47
	v_cvt_f64_f32_e32 v[48:49], v31
	;; [unrolled: 1-line block ×3, first 2 shown]
	v_div_scale_f64 v[50:51], s[68:69], v[48:49], v[48:49], v[46:47]
	v_rcp_f64_e32 v[52:53], v[50:51]
	v_fma_f64 v[54:55], -v[50:51], v[52:53], 1.0
	v_fma_f64 v[52:53], v[52:53], v[54:55], v[52:53]
	v_fma_f64 v[54:55], -v[50:51], v[52:53], 1.0
	v_fma_f64 v[52:53], v[52:53], v[54:55], v[52:53]
	v_div_scale_f64 v[54:55], vcc, v[46:47], v[48:49], v[46:47]
	v_mul_f64 v[56:57], v[54:55], v[52:53]
	v_fma_f64 v[50:51], -v[50:51], v[56:57], v[54:55]
	s_nop 1
	v_div_fmas_f64 v[50:51], v[50:51], v[52:53], v[56:57]
	v_div_scale_f64 v[52:53], s[68:69], v[48:49], v[48:49], v[43:44]
	v_div_fixup_f64 v[46:47], v[50:51], v[48:49], v[46:47]
	v_rcp_f64_e32 v[54:55], v[52:53]
	v_cvt_f64_f32_e32 v[50:51], v45
	v_fma_f64 v[56:57], -v[52:53], v[54:55], 1.0
	v_fma_f64 v[54:55], v[54:55], v[56:57], v[54:55]
	v_fma_f64 v[56:57], -v[52:53], v[54:55], 1.0
	v_fma_f64 v[54:55], v[54:55], v[56:57], v[54:55]
	v_div_scale_f64 v[56:57], vcc, v[43:44], v[48:49], v[43:44]
	v_mul_f64 v[58:59], v[56:57], v[54:55]
	v_fma_f64 v[52:53], -v[52:53], v[58:59], v[56:57]
	s_nop 1
	v_div_fmas_f64 v[52:53], v[52:53], v[54:55], v[58:59]
	v_div_fixup_f64 v[48:49], v[52:53], v[48:49], v[43:44]
	v_mul_f64 v[43:44], v[48:49], v[43:44]
	v_fma_f64 v[43:44], v[46:47], v[50:51], -v[43:44]
	v_cvt_f32_f64_e32 v32, v[43:44]
.LBB6_111:                              ;   in Loop: Header=BB6_55 Depth=2
	s_or_b64 exec, exec, s[8:9]
                                        ; implicit-def: $vgpr46
                                        ; implicit-def: $vgpr47
                                        ; implicit-def: $vgpr45
                                        ; implicit-def: $vgpr44
.LBB6_112:                              ;   in Loop: Header=BB6_55 Depth=2
	s_or_saveexec_b64 s[6:7], s[6:7]
	v_mov_b32_e32 v43, 1
	s_xor_b64 exec, exec, s[6:7]
	s_cbranch_execz .LBB6_114
; %bb.113:                              ;   in Loop: Header=BB6_55 Depth=2
	v_sub_f32_e32 v31, v46, v42
	v_mul_f32_e32 v31, 0.5, v31
	v_cvt_f64_f32_e32 v[46:47], v47
	v_cvt_f64_f32_e32 v[48:49], v31
	;; [unrolled: 1-line block ×3, first 2 shown]
	v_div_scale_f64 v[50:51], s[8:9], v[48:49], v[48:49], v[46:47]
	v_rcp_f64_e32 v[52:53], v[50:51]
	v_fma_f64 v[54:55], -v[50:51], v[52:53], 1.0
	v_fma_f64 v[52:53], v[52:53], v[54:55], v[52:53]
	v_fma_f64 v[54:55], -v[50:51], v[52:53], 1.0
	v_fma_f64 v[52:53], v[52:53], v[54:55], v[52:53]
	v_div_scale_f64 v[54:55], vcc, v[46:47], v[48:49], v[46:47]
	v_mul_f64 v[56:57], v[54:55], v[52:53]
	v_fma_f64 v[50:51], -v[50:51], v[56:57], v[54:55]
	s_nop 1
	v_div_fmas_f64 v[50:51], v[50:51], v[52:53], v[56:57]
	v_div_scale_f64 v[52:53], s[8:9], v[48:49], v[48:49], v[43:44]
	v_div_fixup_f64 v[46:47], v[50:51], v[48:49], v[46:47]
	v_rcp_f64_e32 v[54:55], v[52:53]
	v_cvt_f64_f32_e32 v[50:51], v45
	v_fma_f64 v[56:57], -v[52:53], v[54:55], 1.0
	v_fma_f64 v[54:55], v[54:55], v[56:57], v[54:55]
	v_fma_f64 v[56:57], -v[52:53], v[54:55], 1.0
	v_fma_f64 v[54:55], v[54:55], v[56:57], v[54:55]
	v_div_scale_f64 v[56:57], vcc, v[43:44], v[48:49], v[43:44]
	v_mul_f64 v[58:59], v[56:57], v[54:55]
	v_fma_f64 v[52:53], -v[52:53], v[58:59], v[56:57]
	s_nop 1
	v_div_fmas_f64 v[52:53], v[52:53], v[54:55], v[58:59]
	v_div_fixup_f64 v[48:49], v[52:53], v[48:49], v[43:44]
	v_mul_f64 v[43:44], v[48:49], v[43:44]
	v_fma_f64 v[43:44], v[46:47], v[50:51], -v[43:44]
	v_cvt_f32_f64_e32 v32, v[43:44]
	v_mov_b32_e32 v43, -1
.LBB6_114:                              ;   in Loop: Header=BB6_55 Depth=2
	s_or_b64 exec, exec, s[6:7]
	v_cmp_nle_f32_e64 s[6:7], 0, v33
	v_cndmask_b32_e64 v42, v42, -v42, s[6:7]
	v_add_f32_e32 v33, v33, v42
	v_cmp_ngt_f32_e64 s[8:9], |v33|, |v26|
                                        ; implicit-def: $vgpr44
                                        ; implicit-def: $vgpr42
	s_and_saveexec_b64 s[68:69], s[8:9]
	s_xor_b64 s[68:69], exec, s[68:69]
	s_cbranch_execz .LBB6_118
; %bb.115:                              ;   in Loop: Header=BB6_55 Depth=2
	v_mov_b32_e32 v42, 0
	v_cmp_neq_f32_e32 vcc, 0, v26
	v_mov_b32_e32 v44, 1.0
	s_and_saveexec_b64 s[70:71], vcc
	s_cbranch_execz .LBB6_117
; %bb.116:                              ;   in Loop: Header=BB6_55 Depth=2
	v_div_scale_f32 v42, s[8:9], v26, v26, -v33
	v_div_scale_f32 v44, vcc, -v33, v26, -v33
	v_rcp_f32_e32 v45, v42
	v_fma_f32 v46, -v42, v45, 1.0
	v_fmac_f32_e32 v45, v46, v45
	v_mul_f32_e32 v46, v44, v45
	v_fma_f32 v47, -v42, v46, v44
	v_fmac_f32_e32 v46, v47, v45
	v_fma_f32 v42, -v42, v46, v44
	v_div_fmas_f32 v42, v42, v45, v46
	v_div_fixup_f32 v26, v42, v26, -v33
	v_fma_f32 v33, v26, v26, 1.0
	v_mul_f32_e32 v42, 0x4f800000, v33
	v_cmp_gt_f32_e32 vcc, s50, v33
	v_cndmask_b32_e32 v33, v33, v42, vcc
	v_sqrt_f32_e32 v42, v33
	v_add_u32_e32 v44, -1, v42
	v_add_u32_e32 v45, 1, v42
	v_fma_f32 v46, -v44, v42, v33
	v_fma_f32 v47, -v45, v42, v33
	v_cmp_ge_f32_e64 s[8:9], 0, v46
	v_cndmask_b32_e64 v42, v42, v44, s[8:9]
	v_cmp_lt_f32_e64 s[8:9], 0, v47
	v_cndmask_b32_e64 v42, v42, v45, s[8:9]
	v_mul_f32_e32 v44, 0x37800000, v42
	v_cndmask_b32_e32 v42, v42, v44, vcc
	v_cmp_class_f32_e32 vcc, v33, v38
	v_cndmask_b32_e32 v33, v42, v33, vcc
	v_div_scale_f32 v42, s[8:9], v33, v33, 1.0
	v_div_scale_f32 v44, vcc, 1.0, v33, 1.0
	v_rcp_f32_e32 v45, v42
	v_fma_f32 v46, -v42, v45, 1.0
	v_fmac_f32_e32 v45, v46, v45
	v_mul_f32_e32 v46, v44, v45
	v_fma_f32 v47, -v42, v46, v44
	v_fmac_f32_e32 v46, v47, v45
	v_fma_f32 v42, -v42, v46, v44
	v_div_fmas_f32 v42, v42, v45, v46
	v_div_fixup_f32 v44, v42, v33, 1.0
	v_mul_f32_e32 v42, v26, v44
.LBB6_117:                              ;   in Loop: Header=BB6_55 Depth=2
	s_or_b64 exec, exec, s[70:71]
                                        ; implicit-def: $vgpr33
                                        ; implicit-def: $vgpr26
.LBB6_118:                              ;   in Loop: Header=BB6_55 Depth=2
	s_andn2_saveexec_b64 s[68:69], s[68:69]
	s_cbranch_execz .LBB6_120
; %bb.119:                              ;   in Loop: Header=BB6_55 Depth=2
	v_div_scale_f32 v42, s[8:9], v33, v33, -v26
	v_div_scale_f32 v44, vcc, -v26, v33, -v26
	v_rcp_f32_e32 v45, v42
	v_fma_f32 v46, -v42, v45, 1.0
	v_fmac_f32_e32 v45, v46, v45
	v_mul_f32_e32 v46, v44, v45
	v_fma_f32 v47, -v42, v46, v44
	v_fmac_f32_e32 v46, v47, v45
	v_fma_f32 v42, -v42, v46, v44
	v_div_fmas_f32 v42, v42, v45, v46
	v_div_fixup_f32 v26, v42, v33, -v26
	v_fma_f32 v33, v26, v26, 1.0
	v_mul_f32_e32 v42, 0x4f800000, v33
	v_cmp_gt_f32_e32 vcc, s50, v33
	v_cndmask_b32_e32 v33, v33, v42, vcc
	v_sqrt_f32_e32 v42, v33
	v_add_u32_e32 v44, -1, v42
	v_add_u32_e32 v45, 1, v42
	v_fma_f32 v46, -v44, v42, v33
	v_fma_f32 v47, -v45, v42, v33
	v_cmp_ge_f32_e64 s[8:9], 0, v46
	v_cndmask_b32_e64 v42, v42, v44, s[8:9]
	v_cmp_lt_f32_e64 s[8:9], 0, v47
	v_cndmask_b32_e64 v42, v42, v45, s[8:9]
	v_mul_f32_e32 v44, 0x37800000, v42
	v_cndmask_b32_e32 v42, v42, v44, vcc
	v_cmp_class_f32_e32 vcc, v33, v38
	v_cndmask_b32_e32 v33, v42, v33, vcc
	v_div_scale_f32 v42, s[8:9], v33, v33, 1.0
	v_div_scale_f32 v44, vcc, 1.0, v33, 1.0
	v_rcp_f32_e32 v45, v42
	v_fma_f32 v46, -v42, v45, 1.0
	v_fmac_f32_e32 v45, v46, v45
	v_mul_f32_e32 v46, v44, v45
	v_fma_f32 v47, -v42, v46, v44
	v_fmac_f32_e32 v46, v47, v45
	v_fma_f32 v42, -v42, v46, v44
	v_div_fmas_f32 v42, v42, v45, v46
	v_div_fixup_f32 v42, v42, v33, 1.0
	v_mul_f32_e32 v44, v26, v42
.LBB6_120:                              ;   in Loop: Header=BB6_55 Depth=2
	s_or_b64 exec, exec, s[68:69]
	v_cndmask_b32_e64 v26, 1, -1, s[6:7]
	v_cmp_eq_u32_e32 vcc, v43, v26
	v_cndmask_b32_e32 v33, v42, v44, vcc
	v_cndmask_b32_e64 v42, v44, -v42, vcc
	v_mov_b32_e32 v43, s89
	v_add_co_u32_e32 v26, vcc, s88, v27
	v_addc_co_u32_e32 v27, vcc, v43, v28, vcc
	global_store_dword v[26:27], v42, off
	v_mov_b32_e32 v28, s49
	v_add_co_u32_e32 v26, vcc, s48, v26
	v_addc_co_u32_e32 v27, vcc, v27, v28, vcc
	v_add_u32_e32 v23, 2, v23
	global_store_dword v[26:27], v33, off offset:-4
	global_store_dwordx2 v[24:25], v[31:32], off
	global_store_dword v[29:30], v34, off
	ds_write_b32 v34, v23
	s_or_b64 exec, exec, s[66:67]
                                        ; implicit-def: $vgpr29
.LBB6_121:                              ;   in Loop: Header=BB6_55 Depth=2
	s_andn2_saveexec_b64 s[6:7], s[64:65]
.LBB6_122:                              ;   in Loop: Header=BB6_55 Depth=2
	ds_write_b32 v34, v29
.LBB6_123:                              ;   in Loop: Header=BB6_55 Depth=2
	s_or_b64 exec, exec, s[6:7]
.LBB6_124:                              ;   in Loop: Header=BB6_55 Depth=2
	s_or_b64 exec, exec, s[62:63]
	s_waitcnt vmcnt(0) lgkmcnt(0)
	s_barrier
	ds_read_b64 v[23:24], v34
	s_waitcnt lgkmcnt(0)
	v_readfirstlane_b32 s6, v24
	v_cmp_eq_u32_e32 vcc, s6, v23
	v_mov_b32_e32 v23, s6
	s_cbranch_vccnz .LBB6_54
; %bb.125:                              ;   in Loop: Header=BB6_55 Depth=2
	s_and_saveexec_b64 s[8:9], s[2:3]
	s_cbranch_execz .LBB6_53
; %bb.126:                              ;   in Loop: Header=BB6_55 Depth=2
	ds_read_b32 v23, v34 offset:16
	v_mov_b32_e32 v27, v0
	s_waitcnt lgkmcnt(0)
	v_readfirstlane_b32 s7, v23
	s_mul_i32 s62, s7, s15
	s_ashr_i32 s63, s62, 31
	s_lshl_b64 s[64:65], s[62:63], 2
	s_add_u32 s41, s86, s64
	s_addc_u32 s66, s87, s65
	s_sub_i32 s67, s6, s7
	s_mul_hi_i32 s7, s67, s44
	s_mul_i32 s6, s67, s44
	s_lshl_b64 s[6:7], s[6:7], 2
	s_add_u32 s68, s41, s6
	s_addc_u32 s69, s66, s7
	v_ashrrev_i32_e32 v24, 31, v23
	s_cmp_gt_i32 s67, 0
	v_lshlrev_b64 v[23:24], 2, v[23:24]
	s_cselect_b64 s[62:63], -1, 0
	s_add_i32 s60, s67, -1
	s_lshl_b64 s[6:7], s[60:61], 2
	v_mov_b32_e32 v25, s7
	v_add_co_u32_e32 v23, vcc, s6, v23
	s_mul_i32 s6, s57, s60
	s_mul_hi_u32 s7, s56, s60
	v_addc_co_u32_e32 v24, vcc, v24, v25, vcc
	s_add_i32 s7, s7, s6
	s_mul_i32 s6, s56, s60
	v_mov_b32_e32 v25, s89
	v_add_co_u32_e32 v23, vcc, s88, v23
	s_add_u32 s6, s6, s64
	v_addc_co_u32_e32 v24, vcc, v25, v24, vcc
	s_addc_u32 s7, s7, s65
	v_mov_b32_e32 v26, s7
	v_add_co_u32_e32 v25, vcc, s6, v36
	v_addc_co_u32_e32 v26, vcc, v37, v26, vcc
	s_mov_b64 s[64:65], 0
	s_branch .LBB6_128
.LBB6_127:                              ;   in Loop: Header=BB6_128 Depth=3
	v_add_u32_e32 v27, s34, v27
	v_cmp_le_i32_e32 vcc, s10, v27
	s_waitcnt vmcnt(0)
	global_store_dword v[28:29], v42, off
	v_mov_b32_e32 v28, s47
	s_or_b64 s[64:65], vcc, s[64:65]
	v_add_co_u32_e32 v25, vcc, s46, v25
	v_addc_co_u32_e32 v26, vcc, v26, v28, vcc
	s_andn2_b64 exec, exec, s[64:65]
	s_cbranch_execz .LBB6_53
.LBB6_128:                              ;   Parent Loop BB6_7 Depth=1
                                        ;     Parent Loop BB6_55 Depth=2
                                        ; =>    This Loop Header: Depth=3
                                        ;         Child Loop BB6_129 Depth 4
	v_ashrrev_i32_e32 v28, 31, v27
	v_lshlrev_b64 v[28:29], 2, v[27:28]
	v_mov_b32_e32 v31, s69
	v_add_co_u32_e32 v30, vcc, s68, v28
	v_addc_co_u32_e32 v31, vcc, v31, v29, vcc
	global_load_dword v42, v[30:31], off
	v_mov_b32_e32 v30, s66
	v_add_co_u32_e32 v28, vcc, s41, v28
	v_addc_co_u32_e32 v29, vcc, v30, v29, vcc
	v_mov_b32_e32 v31, v26
	v_mov_b32_e32 v33, v24
	s_andn2_b64 vcc, exec, s[62:63]
	v_mov_b32_e32 v30, v25
	v_mov_b32_e32 v32, v23
	s_mov_b32 s6, s67
	s_cbranch_vccnz .LBB6_127
.LBB6_129:                              ;   Parent Loop BB6_7 Depth=1
                                        ;     Parent Loop BB6_55 Depth=2
                                        ;       Parent Loop BB6_128 Depth=3
                                        ; =>      This Inner Loop Header: Depth=4
	v_mov_b32_e32 v44, s35
	v_add_co_u32_e32 v43, vcc, s11, v32
	v_addc_co_u32_e32 v44, vcc, v33, v44, vcc
	global_load_dword v45, v[30:31], off
	global_load_dword v46, v[43:44], off
	global_load_dword v47, v[32:33], off
	s_mul_i32 s71, s6, s45
	s_mul_hi_u32 s72, s6, s44
	s_add_i32 s60, s6, -1
	s_waitcnt vmcnt(3)
	v_mov_b32_e32 v48, v42
	s_mul_i32 s70, s6, s44
	v_add_co_u32_e32 v32, vcc, -4, v32
	v_mov_b32_e32 v42, s95
	v_add_co_u32_e64 v30, s[6:7], s94, v30
	s_add_i32 s71, s72, s71
	v_addc_co_u32_e32 v33, vcc, -1, v33, vcc
	v_addc_co_u32_e64 v31, vcc, v31, v42, s[6:7]
	s_lshl_b64 s[70:71], s[70:71], 2
	v_mov_b32_e32 v42, s71
	v_add_co_u32_e32 v43, vcc, s70, v28
	v_addc_co_u32_e32 v44, vcc, v29, v42, vcc
	s_mov_b32 s6, s60
	s_cmp_eq_u32 s60, 0
	s_waitcnt vmcnt(0)
	v_mul_f32_e32 v42, v47, v45
	v_mul_f32_e32 v45, v46, v45
	v_fmac_f32_e32 v42, v48, v46
	v_fma_f32 v45, v48, v47, -v45
	global_store_dword v[43:44], v45, off
	s_cbranch_scc0 .LBB6_129
	s_branch .LBB6_127
.LBB6_130:                              ;   in Loop: Header=BB6_55 Depth=2
	s_or_b64 exec, exec, s[66:67]
                                        ; implicit-def: $vgpr29
	s_andn2_saveexec_b64 s[6:7], s[64:65]
	s_cbranch_execnz .LBB6_122
	s_branch .LBB6_123
.LBB6_131:                              ;   in Loop: Header=BB6_133 Depth=2
	s_or_b64 exec, exec, s[4:5]
	s_waitcnt vmcnt(0)
	s_barrier
	ds_read_b32 v15, v34
.LBB6_132:                              ;   in Loop: Header=BB6_133 Depth=2
	ds_read2_b32 v[17:18], v34 offset0:5 offset1:7
	s_waitcnt lgkmcnt(0)
	v_cmp_ge_i32_e32 vcc, v15, v17
	v_cmp_gt_i32_e64 s[4:5], s28, v18
	s_and_b64 s[4:5], vcc, s[4:5]
	s_andn2_b64 vcc, exec, s[4:5]
	s_cbranch_vccnz .LBB6_210
.LBB6_133:                              ;   Parent Loop BB6_7 Depth=1
                                        ; =>  This Loop Header: Depth=2
                                        ;       Child Loop BB6_139 Depth 3
                                        ;       Child Loop BB6_159 Depth 3
	;; [unrolled: 1-line block ×3, first 2 shown]
                                        ;         Child Loop BB6_207 Depth 4
	s_and_saveexec_b64 s[8:9], s[0:1]
	s_cbranch_execz .LBB6_202
; %bb.134:                              ;   in Loop: Header=BB6_133 Depth=2
	v_cmp_gt_i32_e32 vcc, v15, v17
	s_mov_b64 s[4:5], 0
	s_cbranch_vccnz .LBB6_136
; %bb.135:                              ;   in Loop: Header=BB6_133 Depth=2
	v_ashrrev_i32_e32 v16, 31, v15
	v_mov_b32_e32 v21, v16
	s_mov_b64 s[6:7], -1
	v_mov_b32_e32 v20, v15
	v_mov_b32_e32 v19, v15
	s_cbranch_execz .LBB6_137
	s_branch .LBB6_142
.LBB6_136:                              ;   in Loop: Header=BB6_133 Depth=2
                                        ; implicit-def: $vgpr20_vgpr21
	s_mov_b64 s[6:7], 0
	v_mov_b32_e32 v19, v15
.LBB6_137:                              ;   in Loop: Header=BB6_133 Depth=2
	v_ashrrev_i32_e32 v16, 31, v15
	v_lshlrev_b64 v[7:8], 2, v[15:16]
	v_mov_b32_e32 v2, s33
	v_add_co_u32_e32 v1, vcc, s14, v7
	v_addc_co_u32_e32 v2, vcc, v2, v8, vcc
	v_mov_b32_e32 v19, s59
	v_add_co_u32_e32 v7, vcc, s58, v7
	v_addc_co_u32_e32 v8, vcc, v19, v8, vcc
	v_mov_b32_e32 v19, v15
	s_branch .LBB6_139
.LBB6_138:                              ;   in Loop: Header=BB6_139 Depth=3
	v_add_u32_e32 v19, -1, v40
	v_add_co_u32_e32 v7, vcc, -4, v7
	v_addc_co_u32_e32 v8, vcc, -1, v8, vcc
	s_mov_b64 s[6:7], 0
	v_cmp_le_i32_e64 s[4:5], v19, v17
	s_andn2_b64 vcc, exec, s[4:5]
	v_add_co_u32_e64 v1, s[4:5], -4, v1
	v_addc_co_u32_e64 v2, s[4:5], -1, v2, s[4:5]
	s_cbranch_vccz .LBB6_141
.LBB6_139:                              ;   Parent Loop BB6_7 Depth=1
                                        ;     Parent Loop BB6_133 Depth=2
                                        ; =>    This Inner Loop Header: Depth=3
	global_load_dword v22, v[1:2], off offset:-4
	global_load_dwordx2 v[20:21], v[7:8], off
	v_mov_b32_e32 v40, v19
	s_waitcnt vmcnt(1)
	v_mul_f32_e32 v19, v22, v22
	s_waitcnt vmcnt(0)
	v_mul_f32_e32 v20, v21, v20
	v_mul_f32_e64 v20, v35, |v20|
	v_cmp_le_f32_e64 s[4:5], |v19|, v20
	s_and_b64 vcc, exec, s[4:5]
	s_cbranch_vccz .LBB6_138
; %bb.140:                              ;   in Loop: Header=BB6_133 Depth=2
	s_mov_b64 s[6:7], -1
                                        ; implicit-def: $vgpr19
                                        ; implicit-def: $vgpr7_vgpr8
	v_add_co_u32_e64 v1, s[4:5], -4, v1
	v_addc_co_u32_e64 v2, s[4:5], -1, v2, s[4:5]
.LBB6_141:                              ;   in Loop: Header=BB6_133 Depth=2
	v_mov_b32_e32 v7, v15
	v_mov_b32_e32 v21, v16
	s_xor_b64 s[6:7], s[6:7], -1
	s_mov_b64 s[4:5], -1
	v_mov_b32_e32 v8, v16
	v_mov_b32_e32 v19, v17
	;; [unrolled: 1-line block ×3, first 2 shown]
.LBB6_142:                              ;   in Loop: Header=BB6_133 Depth=2
	s_and_b64 vcc, exec, s[6:7]
	s_cbranch_vccnz .LBB6_171
; %bb.143:                              ;   in Loop: Header=BB6_133 Depth=2
	s_andn2_b64 vcc, exec, s[4:5]
	s_cbranch_vccnz .LBB6_145
.LBB6_144:                              ;   in Loop: Header=BB6_133 Depth=2
	v_mov_b32_e32 v21, v8
	v_mov_b32_e32 v20, v7
	;; [unrolled: 1-line block ×3, first 2 shown]
	ds_write2_b32 v34, v40, v15 offset0:1 offset1:4
	global_store_dword v[1:2], v34, off
.LBB6_145:                              ;   in Loop: Header=BB6_133 Depth=2
	v_lshlrev_b64 v[21:22], 2, v[20:21]
	v_mov_b32_e32 v17, s23
	v_add_co_u32_e32 v16, vcc, s22, v21
	v_addc_co_u32_e32 v17, vcc, v17, v22, vcc
	global_load_dword v27, v[16:17], off
	v_cmp_ne_u32_e32 vcc, v19, v15
	v_add_u32_e32 v20, -1, v15
	s_waitcnt vmcnt(0)
	ds_write_b32 v34, v27 offset:8
	s_and_saveexec_b64 s[4:5], vcc
	s_xor_b64 s[62:63], exec, s[4:5]
	s_cbranch_execz .LBB6_199
; %bb.146:                              ;   in Loop: Header=BB6_133 Depth=2
	v_cmp_ne_u32_e32 vcc, v19, v20
	s_and_saveexec_b64 s[4:5], vcc
	s_xor_b64 s[6:7], exec, s[4:5]
	s_cbranch_execz .LBB6_175
; %bb.147:                              ;   in Loop: Header=BB6_133 Depth=2
	v_mov_b32_e32 v23, s33
	v_add_co_u32_e32 v21, vcc, s14, v21
	v_addc_co_u32_e32 v22, vcc, v23, v22, vcc
	global_load_dword v20, v[16:17], off offset:-4
	global_load_dword v30, v[21:22], off offset:-4
	v_mov_b32_e32 v32, s23
	v_add_u32_e32 v18, 1, v18
	ds_write2_b32 v34, v34, v18 offset0:2 offset1:7
	s_waitcnt vmcnt(1)
	v_sub_f32_e32 v29, v20, v27
	s_waitcnt vmcnt(0)
	v_add_f32_e32 v31, v30, v30
	v_div_scale_f32 v23, s[4:5], v31, v31, v29
	v_div_scale_f32 v24, vcc, v29, v31, v29
	v_ashrrev_i32_e32 v20, 31, v19
	v_lshlrev_b64 v[25:26], 2, v[19:20]
	v_rcp_f32_e32 v28, v23
	v_fma_f32 v20, -v23, v28, 1.0
	v_fmac_f32_e32 v28, v20, v28
	v_mul_f32_e32 v20, v24, v28
	v_fma_f32 v33, -v23, v20, v24
	v_fmac_f32_e32 v20, v33, v28
	v_fma_f32 v23, -v23, v20, v24
	v_div_fmas_f32 v20, v23, v28, v20
	v_add_co_u32_e32 v23, vcc, s22, v25
	v_addc_co_u32_e32 v24, vcc, v32, v26, vcc
	global_load_dword v28, v[23:24], off
	v_div_fixup_f32 v20, v20, v31, v29
	v_fma_f32 v29, v20, v20, 1.0
	v_mul_f32_e32 v31, 0x4f800000, v29
	v_cmp_gt_f32_e32 vcc, s50, v29
	v_cndmask_b32_e32 v29, v29, v31, vcc
	v_sqrt_f32_e32 v31, v29
	v_add_u32_e32 v32, -1, v31
	v_add_u32_e32 v33, 1, v31
	v_fma_f32 v42, -v32, v31, v29
	v_fma_f32 v43, -v33, v31, v29
	v_cmp_ge_f32_e64 s[4:5], 0, v42
	v_cndmask_b32_e64 v31, v31, v32, s[4:5]
	v_cmp_lt_f32_e64 s[4:5], 0, v43
	v_cndmask_b32_e64 v31, v31, v33, s[4:5]
	v_mul_f32_e32 v32, 0x37800000, v31
	v_cndmask_b32_e32 v31, v31, v32, vcc
	v_cmp_class_f32_e32 vcc, v29, v38
	v_cndmask_b32_e32 v29, v31, v29, vcc
	v_cmp_nle_f32_e32 vcc, 0, v20
	v_cndmask_b32_e64 v29, |v29|, -|v29|, vcc
	v_add_f32_e32 v20, v20, v29
	v_div_scale_f32 v29, s[4:5], v20, v20, v30
	v_div_scale_f32 v31, vcc, v30, v20, v30
	v_rcp_f32_e32 v32, v29
	v_fma_f32 v33, -v29, v32, 1.0
	v_fmac_f32_e32 v32, v33, v32
	v_mul_f32_e32 v33, v31, v32
	v_fma_f32 v42, -v29, v33, v31
	v_fmac_f32_e32 v33, v42, v32
	v_fma_f32 v29, -v29, v33, v31
	v_div_fmas_f32 v31, v29, v32, v33
	v_mov_b32_e32 v29, 0
	v_cmp_lt_i32_e32 vcc, v19, v15
	v_div_fixup_f32 v20, v31, v20, v30
	s_waitcnt vmcnt(0)
	v_sub_f32_e32 v18, v28, v27
	v_add_f32_e32 v18, v18, v20
	s_and_saveexec_b64 s[64:65], vcc
	s_cbranch_execz .LBB6_174
; %bb.148:                              ;   in Loop: Header=BB6_133 Depth=2
	v_mov_b32_e32 v20, s33
	v_add_co_u32_e32 v29, vcc, s14, v25
	v_addc_co_u32_e32 v30, vcc, v20, v26, vcc
	global_load_dword v30, v[29:30], off
	v_mov_b32_e32 v32, 0
	v_mov_b32_e32 v20, 1.0
	s_waitcnt vmcnt(0)
	v_cmp_neq_f32_e32 vcc, 0, v30
	s_and_saveexec_b64 s[66:67], vcc
	s_cbranch_execz .LBB6_156
; %bb.149:                              ;   in Loop: Header=BB6_133 Depth=2
	v_mov_b32_e32 v20, 0
	v_cmp_neq_f32_e32 vcc, 0, v18
	v_mov_b32_e32 v32, 1.0
	s_and_saveexec_b64 s[68:69], vcc
	s_cbranch_execz .LBB6_155
; %bb.150:                              ;   in Loop: Header=BB6_133 Depth=2
	v_cmp_ngt_f32_e64 s[4:5], |v30|, |v18|
                                        ; implicit-def: $vgpr32
                                        ; implicit-def: $vgpr20
	s_and_saveexec_b64 s[70:71], s[4:5]
	s_xor_b64 s[70:71], exec, s[70:71]
	s_cbranch_execz .LBB6_152
; %bb.151:                              ;   in Loop: Header=BB6_133 Depth=2
	v_div_scale_f32 v20, s[4:5], v18, v18, -v30
	v_div_scale_f32 v27, vcc, -v30, v18, -v30
	v_rcp_f32_e32 v29, v20
	v_fma_f32 v31, -v20, v29, 1.0
	v_fmac_f32_e32 v29, v31, v29
	v_mul_f32_e32 v31, v27, v29
	v_fma_f32 v32, -v20, v31, v27
	v_fmac_f32_e32 v31, v32, v29
	v_fma_f32 v20, -v20, v31, v27
	v_div_fmas_f32 v20, v20, v29, v31
	v_div_fixup_f32 v18, v20, v18, -v30
	v_fma_f32 v20, v18, v18, 1.0
	v_mul_f32_e32 v27, 0x4f800000, v20
	v_cmp_gt_f32_e32 vcc, s50, v20
	v_cndmask_b32_e32 v20, v20, v27, vcc
	v_sqrt_f32_e32 v27, v20
	v_add_u32_e32 v29, -1, v27
	v_add_u32_e32 v31, 1, v27
	v_fma_f32 v32, -v29, v27, v20
	v_fma_f32 v33, -v31, v27, v20
	v_cmp_ge_f32_e64 s[4:5], 0, v32
	v_cndmask_b32_e64 v27, v27, v29, s[4:5]
	v_cmp_lt_f32_e64 s[4:5], 0, v33
	v_cndmask_b32_e64 v27, v27, v31, s[4:5]
	v_mul_f32_e32 v29, 0x37800000, v27
	v_cndmask_b32_e32 v27, v27, v29, vcc
	v_cmp_class_f32_e32 vcc, v20, v38
	v_cndmask_b32_e32 v20, v27, v20, vcc
	v_div_scale_f32 v27, s[4:5], v20, v20, 1.0
	v_div_scale_f32 v29, vcc, 1.0, v20, 1.0
	v_rcp_f32_e32 v31, v27
	v_fma_f32 v32, -v27, v31, 1.0
	v_fmac_f32_e32 v31, v32, v31
	v_mul_f32_e32 v32, v29, v31
	v_fma_f32 v33, -v27, v32, v29
	v_fmac_f32_e32 v32, v33, v31
	v_fma_f32 v27, -v27, v32, v29
	v_div_fmas_f32 v27, v27, v31, v32
	v_div_fixup_f32 v20, v27, v20, 1.0
	v_mul_f32_e32 v32, v18, v20
                                        ; implicit-def: $vgpr18
.LBB6_152:                              ;   in Loop: Header=BB6_133 Depth=2
	s_andn2_saveexec_b64 s[70:71], s[70:71]
	s_cbranch_execz .LBB6_154
; %bb.153:                              ;   in Loop: Header=BB6_133 Depth=2
	v_div_scale_f32 v20, s[4:5], v30, v30, -v18
	v_div_scale_f32 v27, vcc, -v18, v30, -v18
	v_rcp_f32_e32 v29, v20
	v_fma_f32 v31, -v20, v29, 1.0
	v_fmac_f32_e32 v29, v31, v29
	v_mul_f32_e32 v31, v27, v29
	v_fma_f32 v32, -v20, v31, v27
	v_fmac_f32_e32 v31, v32, v29
	v_fma_f32 v20, -v20, v31, v27
	v_div_fmas_f32 v20, v20, v29, v31
	v_div_fixup_f32 v18, v20, v30, -v18
	v_fma_f32 v20, v18, v18, 1.0
	v_mul_f32_e32 v27, 0x4f800000, v20
	v_cmp_gt_f32_e32 vcc, s50, v20
	v_cndmask_b32_e32 v20, v20, v27, vcc
	v_sqrt_f32_e32 v27, v20
	v_add_u32_e32 v29, -1, v27
	v_add_u32_e32 v31, 1, v27
	v_fma_f32 v32, -v29, v27, v20
	v_fma_f32 v33, -v31, v27, v20
	v_cmp_ge_f32_e64 s[4:5], 0, v32
	v_cndmask_b32_e64 v27, v27, v29, s[4:5]
	v_cmp_lt_f32_e64 s[4:5], 0, v33
	v_cndmask_b32_e64 v27, v27, v31, s[4:5]
	v_mul_f32_e32 v29, 0x37800000, v27
	v_cndmask_b32_e32 v27, v27, v29, vcc
	v_cmp_class_f32_e32 vcc, v20, v38
	v_cndmask_b32_e32 v20, v27, v20, vcc
	v_div_scale_f32 v27, s[4:5], v20, v20, 1.0
	v_div_scale_f32 v29, vcc, 1.0, v20, 1.0
	v_rcp_f32_e32 v31, v27
	v_fma_f32 v32, -v27, v31, 1.0
	v_fmac_f32_e32 v31, v32, v31
	v_mul_f32_e32 v32, v29, v31
	v_fma_f32 v33, -v27, v32, v29
	v_fmac_f32_e32 v32, v33, v31
	v_fma_f32 v27, -v27, v32, v29
	v_div_fmas_f32 v27, v27, v31, v32
	v_div_fixup_f32 v32, v27, v20, 1.0
	v_mul_f32_e32 v20, v18, v32
.LBB6_154:                              ;   in Loop: Header=BB6_133 Depth=2
	s_or_b64 exec, exec, s[70:71]
.LBB6_155:                              ;   in Loop: Header=BB6_133 Depth=2
	s_or_b64 exec, exec, s[68:69]
.LBB6_156:                              ;   in Loop: Header=BB6_133 Depth=2
	s_or_b64 exec, exec, s[66:67]
	global_load_dword v18, v[23:24], off offset:4
	v_mov_b32_e32 v33, s89
	v_add_co_u32_e32 v25, vcc, s88, v25
	v_addc_co_u32_e32 v26, vcc, v33, v26, vcc
	v_add_f32_e32 v29, v20, v20
	v_mov_b32_e32 v43, s49
	v_add_co_u32_e32 v42, vcc, s48, v25
	v_add_u32_e32 v27, 1, v19
	v_addc_co_u32_e32 v43, vcc, v26, v43, vcc
	v_xor_b32_e32 v31, 0x80000000, v32
	v_cmp_lt_i32_e32 vcc, v27, v15
	s_waitcnt vmcnt(0)
	v_sub_f32_e32 v18, v18, v28
	v_mul_f32_e32 v18, v32, v18
	v_fma_f32 v18, v30, v29, -v18
	v_mul_f32_e64 v29, v18, -v32
	v_fma_f32 v28, v18, -v32, v28
	v_fma_f32 v18, v20, v18, -v30
	ds_write_b32 v34, v29 offset:8
	global_store_dword v[23:24], v28, off
	global_store_dword v[25:26], v20, off
	global_store_dword v[42:43], v31, off offset:-4
	s_and_saveexec_b64 s[66:67], vcc
	s_cbranch_execz .LBB6_173
; %bb.157:                              ;   in Loop: Header=BB6_133 Depth=2
	v_ashrrev_i32_e32 v28, 31, v27
	v_lshlrev_b64 v[27:28], 2, v[27:28]
	v_mov_b32_e32 v24, s89
	v_add_co_u32_e32 v23, vcc, s88, v27
	v_addc_co_u32_e32 v24, vcc, v24, v28, vcc
	v_mov_b32_e32 v26, s55
	v_add_co_u32_e32 v25, vcc, s54, v27
	v_addc_co_u32_e32 v26, vcc, v26, v28, vcc
	;; [unrolled: 3-line block ×3, first 2 shown]
	s_mov_b32 s41, 1
	s_mov_b64 s[68:69], 0
	s_branch .LBB6_159
.LBB6_158:                              ;   in Loop: Header=BB6_159 Depth=3
	global_load_dwordx2 v[42:43], v[27:28], off
	v_add_co_u32_e32 v25, vcc, 4, v25
	v_addc_co_u32_e32 v26, vcc, 0, v26, vcc
	v_add_co_u32_e32 v44, vcc, 4, v27
	v_addc_co_u32_e32 v45, vcc, 0, v28, vcc
	v_mul_f32_e32 v18, v20, v30
	v_mov_b32_e32 v30, s35
	s_add_i32 s41, s41, 1
	v_add_co_u32_e32 v46, vcc, s11, v23
	v_addc_co_u32_e32 v47, vcc, v24, v30, vcc
	v_add_u32_e32 v30, s41, v19
	v_cmp_ge_i32_e32 vcc, v30, v15
	v_add_f32_e32 v20, v32, v32
	v_xor_b32_e32 v31, 0x80000000, v33
	s_or_b64 s[68:69], vcc, s[68:69]
	s_waitcnt vmcnt(0)
	v_sub_f32_e32 v30, v42, v29
	v_sub_f32_e32 v29, v43, v30
	v_mul_f32_e32 v29, v33, v29
	v_fma_f32 v20, v18, v20, -v29
	v_fma_f32 v30, v20, -v33, v30
	global_store_dword v[27:28], v30, off
	global_store_dword v[23:24], v32, off
	;; [unrolled: 1-line block ×3, first 2 shown]
	v_add_co_u32_e32 v23, vcc, 4, v23
	v_mov_b32_e32 v27, v44
	v_mul_f32_e64 v29, v20, -v33
	v_fma_f32 v18, v32, v20, -v18
	v_addc_co_u32_e32 v24, vcc, 0, v24, vcc
	v_mov_b32_e32 v28, v45
	v_mov_b32_e32 v20, v32
	s_andn2_b64 exec, exec, s[68:69]
	s_cbranch_execz .LBB6_172
.LBB6_159:                              ;   Parent Loop BB6_7 Depth=1
                                        ;     Parent Loop BB6_133 Depth=2
                                        ; =>    This Inner Loop Header: Depth=3
	global_load_dword v30, v[25:26], off offset:4
	v_mov_b32_e32 v33, 0
	v_mov_b32_e32 v32, 1.0
	s_waitcnt vmcnt(0)
	v_mul_f32_e32 v31, v31, v30
	v_cmp_neq_f32_e32 vcc, 0, v31
	s_and_saveexec_b64 s[70:71], vcc
	s_cbranch_execz .LBB6_169
; %bb.160:                              ;   in Loop: Header=BB6_159 Depth=3
	v_cmp_neq_f32_e32 vcc, 0, v18
	v_xor_b32_e32 v42, 0x80000000, v31
                                        ; implicit-def: $vgpr33
                                        ; implicit-def: $vgpr32
	s_and_saveexec_b64 s[4:5], vcc
	s_xor_b64 s[72:73], exec, s[4:5]
	s_cbranch_execz .LBB6_166
; %bb.161:                              ;   in Loop: Header=BB6_159 Depth=3
	v_cmp_ngt_f32_e64 s[4:5], |v31|, |v18|
                                        ; implicit-def: $vgpr33
                                        ; implicit-def: $vgpr32
	s_and_saveexec_b64 s[74:75], s[4:5]
	s_xor_b64 s[74:75], exec, s[74:75]
	s_cbranch_execz .LBB6_163
; %bb.162:                              ;   in Loop: Header=BB6_159 Depth=3
	v_div_scale_f32 v32, s[4:5], v18, v18, -v31
	v_div_scale_f32 v33, vcc, -v31, v18, -v31
	v_rcp_f32_e32 v42, v32
	v_fma_f32 v43, -v32, v42, 1.0
	v_fmac_f32_e32 v42, v43, v42
	v_mul_f32_e32 v43, v33, v42
	v_fma_f32 v44, -v32, v43, v33
	v_fmac_f32_e32 v43, v44, v42
	v_fma_f32 v32, -v32, v43, v33
	v_div_fmas_f32 v32, v32, v42, v43
	v_div_fixup_f32 v33, v32, v18, -v31
	v_fma_f32 v32, v33, v33, 1.0
	v_mul_f32_e32 v42, 0x4f800000, v32
	v_cmp_gt_f32_e32 vcc, s50, v32
	v_cndmask_b32_e32 v32, v32, v42, vcc
	v_sqrt_f32_e32 v42, v32
	v_add_u32_e32 v43, -1, v42
	v_add_u32_e32 v44, 1, v42
	v_fma_f32 v45, -v43, v42, v32
	v_fma_f32 v46, -v44, v42, v32
	v_cmp_ge_f32_e64 s[4:5], 0, v45
	v_cndmask_b32_e64 v42, v42, v43, s[4:5]
	v_cmp_lt_f32_e64 s[4:5], 0, v46
	v_cndmask_b32_e64 v42, v42, v44, s[4:5]
	v_mul_f32_e32 v43, 0x37800000, v42
	v_cndmask_b32_e32 v42, v42, v43, vcc
	v_cmp_class_f32_e32 vcc, v32, v38
	v_cndmask_b32_e32 v32, v42, v32, vcc
	v_div_scale_f32 v42, s[4:5], v32, v32, 1.0
	v_div_scale_f32 v43, vcc, 1.0, v32, 1.0
	v_rcp_f32_e32 v44, v42
	v_fma_f32 v45, -v42, v44, 1.0
	v_fmac_f32_e32 v44, v45, v44
	v_mul_f32_e32 v45, v43, v44
	v_fma_f32 v46, -v42, v45, v43
	v_fmac_f32_e32 v45, v46, v44
	v_fma_f32 v42, -v42, v45, v43
	v_div_fmas_f32 v42, v42, v44, v45
	v_div_fixup_f32 v32, v42, v32, 1.0
	v_mul_f32_e32 v33, v33, v32
.LBB6_163:                              ;   in Loop: Header=BB6_159 Depth=3
	s_andn2_saveexec_b64 s[74:75], s[74:75]
	s_cbranch_execz .LBB6_165
; %bb.164:                              ;   in Loop: Header=BB6_159 Depth=3
	v_div_scale_f32 v32, s[4:5], v31, v31, -v18
	v_div_scale_f32 v33, vcc, -v18, v31, -v18
	v_rcp_f32_e32 v42, v32
	v_fma_f32 v43, -v32, v42, 1.0
	v_fmac_f32_e32 v42, v43, v42
	v_mul_f32_e32 v43, v33, v42
	v_fma_f32 v44, -v32, v43, v33
	v_fmac_f32_e32 v43, v44, v42
	v_fma_f32 v32, -v32, v43, v33
	v_div_fmas_f32 v32, v32, v42, v43
	v_div_fixup_f32 v32, v32, v31, -v18
	v_fma_f32 v33, v32, v32, 1.0
	v_mul_f32_e32 v42, 0x4f800000, v33
	v_cmp_gt_f32_e32 vcc, s50, v33
	v_cndmask_b32_e32 v33, v33, v42, vcc
	v_sqrt_f32_e32 v42, v33
	v_add_u32_e32 v43, -1, v42
	v_add_u32_e32 v44, 1, v42
	v_fma_f32 v45, -v43, v42, v33
	v_fma_f32 v46, -v44, v42, v33
	v_cmp_ge_f32_e64 s[4:5], 0, v45
	v_cndmask_b32_e64 v42, v42, v43, s[4:5]
	v_cmp_lt_f32_e64 s[4:5], 0, v46
	v_cndmask_b32_e64 v42, v42, v44, s[4:5]
	v_mul_f32_e32 v43, 0x37800000, v42
	v_cndmask_b32_e32 v42, v42, v43, vcc
	v_cmp_class_f32_e32 vcc, v33, v38
	v_cndmask_b32_e32 v33, v42, v33, vcc
	v_div_scale_f32 v42, s[4:5], v33, v33, 1.0
	v_div_scale_f32 v43, vcc, 1.0, v33, 1.0
	v_rcp_f32_e32 v44, v42
	v_fma_f32 v45, -v42, v44, 1.0
	v_fmac_f32_e32 v44, v45, v44
	v_mul_f32_e32 v45, v43, v44
	v_fma_f32 v46, -v42, v45, v43
	v_fmac_f32_e32 v45, v46, v44
	v_fma_f32 v42, -v42, v45, v43
	v_div_fmas_f32 v42, v42, v44, v45
	v_div_fixup_f32 v33, v42, v33, 1.0
	v_mul_f32_e32 v32, v32, v33
.LBB6_165:                              ;   in Loop: Header=BB6_159 Depth=3
	s_or_b64 exec, exec, s[74:75]
	v_mul_f32_e32 v31, v31, v33
	v_fma_f32 v42, v18, v32, -v31
.LBB6_166:                              ;   in Loop: Header=BB6_159 Depth=3
	s_andn2_saveexec_b64 s[4:5], s[72:73]
; %bb.167:                              ;   in Loop: Header=BB6_159 Depth=3
	v_mov_b32_e32 v32, 0
	v_mov_b32_e32 v33, 1.0
; %bb.168:                              ;   in Loop: Header=BB6_159 Depth=3
	s_or_b64 exec, exec, s[4:5]
	v_mov_b32_e32 v18, v42
.LBB6_169:                              ;   in Loop: Header=BB6_159 Depth=3
	s_or_b64 exec, exec, s[70:71]
	s_cmp_eq_u32 s41, 0
	s_cbranch_scc1 .LBB6_158
; %bb.170:                              ;   in Loop: Header=BB6_159 Depth=3
	global_store_dword v[25:26], v18, off
	s_branch .LBB6_158
.LBB6_171:                              ;   in Loop: Header=BB6_133 Depth=2
	ds_write2_b32 v34, v19, v15 offset0:1 offset1:4
	s_cbranch_execz .LBB6_144
	s_branch .LBB6_145
.LBB6_172:                              ;   in Loop: Header=BB6_133 Depth=2
	s_or_b64 exec, exec, s[68:69]
	ds_write_b32 v34, v29 offset:8
.LBB6_173:                              ;   in Loop: Header=BB6_133 Depth=2
	s_or_b64 exec, exec, s[66:67]
	global_load_dword v27, v[16:17], off
.LBB6_174:                              ;   in Loop: Header=BB6_133 Depth=2
	s_or_b64 exec, exec, s[64:65]
	s_waitcnt vmcnt(0)
	v_sub_f32_e32 v15, v27, v29
	global_store_dword v[16:17], v15, off
	global_store_dword v[21:22], v18, off offset:-4
                                        ; implicit-def: $vgpr16_vgpr17
                                        ; implicit-def: $vgpr21_vgpr22
                                        ; implicit-def: $vgpr15
                                        ; implicit-def: $vgpr27
                                        ; implicit-def: $vgpr19
.LBB6_175:                              ;   in Loop: Header=BB6_133 Depth=2
	s_andn2_saveexec_b64 s[64:65], s[6:7]
	s_cbranch_execz .LBB6_208
; %bb.176:                              ;   in Loop: Header=BB6_133 Depth=2
	v_ashrrev_i32_e32 v20, 31, v19
	v_lshlrev_b64 v[18:19], 2, v[19:20]
	v_mov_b32_e32 v20, s23
	v_add_co_u32_e32 v23, vcc, s22, v18
	v_addc_co_u32_e32 v24, vcc, v20, v19, vcc
	v_mov_b32_e32 v20, s33
	v_add_co_u32_e32 v25, vcc, s14, v18
	v_addc_co_u32_e32 v26, vcc, v20, v19, vcc
	global_load_dword v23, v[23:24], off
	s_nop 0
	global_load_dword v28, v[25:26], off
                                        ; implicit-def: $vgpr26
	s_waitcnt vmcnt(1)
	v_sub_f32_e32 v25, v23, v27
	s_waitcnt vmcnt(0)
	v_add_f32_e32 v20, v28, v28
	v_and_b32_e32 v24, 0x7fffffff, v20
	v_cmp_ngt_f32_e64 s[4:5], |v25|, |v20|
	s_and_saveexec_b64 s[6:7], s[4:5]
	s_xor_b64 s[6:7], exec, s[6:7]
	s_cbranch_execz .LBB6_182
; %bb.177:                              ;   in Loop: Header=BB6_133 Depth=2
	v_cmp_nlt_f32_e64 s[4:5], |v25|, |v20|
                                        ; implicit-def: $vgpr26
	s_and_saveexec_b64 s[66:67], s[4:5]
	s_xor_b64 s[4:5], exec, s[66:67]
	s_cbranch_execz .LBB6_179
; %bb.178:                              ;   in Loop: Header=BB6_133 Depth=2
	v_cvt_f64_f32_e32 v[29:30], v24
                                        ; implicit-def: $vgpr24
	v_mul_f64 v[29:30], v[29:30], s[76:77]
	v_cvt_f32_f64_e32 v26, v[29:30]
.LBB6_179:                              ;   in Loop: Header=BB6_133 Depth=2
	s_andn2_saveexec_b64 s[66:67], s[4:5]
	s_cbranch_execz .LBB6_181
; %bb.180:                              ;   in Loop: Header=BB6_133 Depth=2
	v_and_b32_e32 v26, 0x7fffffff, v25
	v_div_scale_f32 v29, s[4:5], v24, v24, v26
	v_div_scale_f32 v24, vcc, v26, v24, v26
	v_rcp_f32_e32 v26, v29
	v_fma_f32 v30, -v29, v26, 1.0
	v_fmac_f32_e32 v26, v30, v26
	v_mul_f32_e32 v30, v24, v26
	v_fma_f32 v31, -v29, v30, v24
	v_fmac_f32_e32 v30, v31, v26
	v_fma_f32 v24, -v29, v30, v24
	v_div_fmas_f32 v24, v24, v26, v30
	v_div_fixup_f32 v24, v24, |v20|, |v25|
	v_fma_f32 v24, v24, v24, 1.0
	v_mul_f32_e32 v26, 0x4f800000, v24
	v_cmp_gt_f32_e32 vcc, s50, v24
	v_cndmask_b32_e32 v24, v24, v26, vcc
	v_sqrt_f32_e32 v26, v24
	v_add_u32_e32 v29, -1, v26
	v_add_u32_e32 v30, 1, v26
	v_fma_f32 v31, -v29, v26, v24
	v_fma_f32 v32, -v30, v26, v24
	v_cmp_ge_f32_e64 s[4:5], 0, v31
	v_cndmask_b32_e64 v26, v26, v29, s[4:5]
	v_cmp_lt_f32_e64 s[4:5], 0, v32
	v_cndmask_b32_e64 v26, v26, v30, s[4:5]
	v_mul_f32_e32 v29, 0x37800000, v26
	v_cndmask_b32_e32 v26, v26, v29, vcc
	v_cmp_class_f32_e32 vcc, v24, v38
	v_cndmask_b32_e32 v24, v26, v24, vcc
	v_mul_f32_e64 v26, |v20|, v24
.LBB6_181:                              ;   in Loop: Header=BB6_133 Depth=2
	s_or_b64 exec, exec, s[66:67]
                                        ; implicit-def: $vgpr24
.LBB6_182:                              ;   in Loop: Header=BB6_133 Depth=2
	s_andn2_saveexec_b64 s[6:7], s[6:7]
	s_cbranch_execz .LBB6_184
; %bb.183:                              ;   in Loop: Header=BB6_133 Depth=2
	v_and_b32_e32 v26, 0x7fffffff, v25
	v_div_scale_f32 v29, s[4:5], v26, v26, v24
	v_div_scale_f32 v24, vcc, v24, v26, v24
	v_rcp_f32_e32 v26, v29
	v_fma_f32 v30, -v29, v26, 1.0
	v_fmac_f32_e32 v26, v30, v26
	v_mul_f32_e32 v30, v24, v26
	v_fma_f32 v31, -v29, v30, v24
	v_fmac_f32_e32 v30, v31, v26
	v_fma_f32 v24, -v29, v30, v24
	v_div_fmas_f32 v24, v24, v26, v30
	v_div_fixup_f32 v24, v24, |v25|, |v20|
	v_fma_f32 v24, v24, v24, 1.0
	v_mul_f32_e32 v26, 0x4f800000, v24
	v_cmp_gt_f32_e32 vcc, s50, v24
	v_cndmask_b32_e32 v24, v24, v26, vcc
	v_sqrt_f32_e32 v26, v24
	v_add_u32_e32 v29, -1, v26
	v_add_u32_e32 v30, 1, v26
	v_fma_f32 v31, -v29, v26, v24
	v_fma_f32 v32, -v30, v26, v24
	v_cmp_ge_f32_e64 s[4:5], 0, v31
	v_cndmask_b32_e64 v26, v26, v29, s[4:5]
	v_cmp_lt_f32_e64 s[4:5], 0, v32
	v_cndmask_b32_e64 v26, v26, v30, s[4:5]
	v_mul_f32_e32 v29, 0x37800000, v26
	v_cndmask_b32_e32 v26, v26, v29, vcc
	v_cmp_class_f32_e32 vcc, v24, v38
	v_cndmask_b32_e32 v24, v26, v24, vcc
	v_mul_f32_e64 v26, |v25|, v24
.LBB6_184:                              ;   in Loop: Header=BB6_133 Depth=2
	s_or_b64 exec, exec, s[6:7]
	v_add_f32_e32 v30, v27, v23
	v_cmp_gt_f32_e64 vcc, |v23|, |v27|
	v_cndmask_b32_e32 v29, v23, v27, vcc
	v_cndmask_b32_e32 v31, v27, v23, vcc
	v_cmp_ngt_f32_e32 vcc, 0, v30
                                        ; implicit-def: $vgpr24
	s_and_saveexec_b64 s[4:5], vcc
	s_xor_b64 s[6:7], exec, s[4:5]
	s_cbranch_execz .LBB6_190
; %bb.185:                              ;   in Loop: Header=BB6_133 Depth=2
	v_cmp_nlt_f32_e32 vcc, 0, v30
                                        ; implicit-def: $vgpr24
	s_and_saveexec_b64 s[4:5], vcc
	s_xor_b64 s[4:5], exec, s[4:5]
; %bb.186:                              ;   in Loop: Header=BB6_133 Depth=2
	v_mul_f32_e32 v23, 0.5, v26
	v_mul_f32_e32 v24, -0.5, v26
                                        ; implicit-def: $vgpr30
                                        ; implicit-def: $vgpr31
                                        ; implicit-def: $vgpr29
                                        ; implicit-def: $vgpr28
; %bb.187:                              ;   in Loop: Header=BB6_133 Depth=2
	s_andn2_saveexec_b64 s[66:67], s[4:5]
	s_cbranch_execz .LBB6_189
; %bb.188:                              ;   in Loop: Header=BB6_133 Depth=2
	v_add_f32_e32 v23, v30, v26
	v_mul_f32_e32 v23, 0.5, v23
	v_cvt_f64_f32_e32 v[30:31], v31
	v_cvt_f64_f32_e32 v[32:33], v23
	;; [unrolled: 1-line block ×3, first 2 shown]
	v_div_scale_f64 v[42:43], s[4:5], v[32:33], v[32:33], v[30:31]
	v_div_scale_f64 v[44:45], s[4:5], v[32:33], v[32:33], v[27:28]
	;; [unrolled: 1-line block ×3, first 2 shown]
	v_rcp_f64_e32 v[46:47], v[42:43]
	v_rcp_f64_e32 v[48:49], v[44:45]
	v_fma_f64 v[50:51], -v[42:43], v[46:47], 1.0
	v_fma_f64 v[52:53], -v[44:45], v[48:49], 1.0
	v_fma_f64 v[46:47], v[46:47], v[50:51], v[46:47]
	v_div_scale_f64 v[50:51], vcc, v[30:31], v[32:33], v[30:31]
	v_fma_f64 v[48:49], v[48:49], v[52:53], v[48:49]
	v_fma_f64 v[52:53], -v[42:43], v[46:47], 1.0
	v_fma_f64 v[56:57], -v[44:45], v[48:49], 1.0
	v_fma_f64 v[46:47], v[46:47], v[52:53], v[46:47]
	v_fma_f64 v[48:49], v[48:49], v[56:57], v[48:49]
	v_mul_f64 v[52:53], v[50:51], v[46:47]
	v_mul_f64 v[56:57], v[54:55], v[48:49]
	v_fma_f64 v[42:43], -v[42:43], v[52:53], v[50:51]
	v_fma_f64 v[44:45], -v[44:45], v[56:57], v[54:55]
	v_div_fmas_f64 v[42:43], v[42:43], v[46:47], v[52:53]
	s_mov_b64 vcc, s[4:5]
	v_div_fmas_f64 v[44:45], v[44:45], v[48:49], v[56:57]
	v_div_fixup_f64 v[30:31], v[42:43], v[32:33], v[30:31]
	v_div_fixup_f64 v[44:45], v[44:45], v[32:33], v[27:28]
	v_cvt_f64_f32_e32 v[32:33], v29
	v_mul_f64 v[27:28], v[44:45], v[27:28]
	v_fma_f64 v[27:28], v[30:31], v[32:33], -v[27:28]
	v_cvt_f32_f64_e32 v24, v[27:28]
.LBB6_189:                              ;   in Loop: Header=BB6_133 Depth=2
	s_or_b64 exec, exec, s[66:67]
                                        ; implicit-def: $vgpr30
                                        ; implicit-def: $vgpr31
                                        ; implicit-def: $vgpr29
                                        ; implicit-def: $vgpr28
.LBB6_190:                              ;   in Loop: Header=BB6_133 Depth=2
	s_or_saveexec_b64 s[6:7], s[6:7]
	v_mov_b32_e32 v27, 1
	s_xor_b64 exec, exec, s[6:7]
	s_cbranch_execz .LBB6_192
; %bb.191:                              ;   in Loop: Header=BB6_133 Depth=2
	v_sub_f32_e32 v23, v30, v26
	v_mul_f32_e32 v23, 0.5, v23
	v_cvt_f64_f32_e32 v[30:31], v31
	v_cvt_f64_f32_e32 v[32:33], v23
	;; [unrolled: 1-line block ×3, first 2 shown]
	v_div_scale_f64 v[42:43], s[4:5], v[32:33], v[32:33], v[30:31]
	v_div_scale_f64 v[44:45], s[4:5], v[32:33], v[32:33], v[27:28]
	;; [unrolled: 1-line block ×3, first 2 shown]
	v_rcp_f64_e32 v[46:47], v[42:43]
	v_rcp_f64_e32 v[48:49], v[44:45]
	v_fma_f64 v[50:51], -v[42:43], v[46:47], 1.0
	v_fma_f64 v[52:53], -v[44:45], v[48:49], 1.0
	v_fma_f64 v[46:47], v[46:47], v[50:51], v[46:47]
	v_div_scale_f64 v[50:51], vcc, v[30:31], v[32:33], v[30:31]
	v_fma_f64 v[48:49], v[48:49], v[52:53], v[48:49]
	v_fma_f64 v[52:53], -v[42:43], v[46:47], 1.0
	v_fma_f64 v[56:57], -v[44:45], v[48:49], 1.0
	v_fma_f64 v[46:47], v[46:47], v[52:53], v[46:47]
	v_fma_f64 v[48:49], v[48:49], v[56:57], v[48:49]
	v_mul_f64 v[52:53], v[50:51], v[46:47]
	v_mul_f64 v[56:57], v[54:55], v[48:49]
	v_fma_f64 v[42:43], -v[42:43], v[52:53], v[50:51]
	v_fma_f64 v[44:45], -v[44:45], v[56:57], v[54:55]
	v_div_fmas_f64 v[42:43], v[42:43], v[46:47], v[52:53]
	s_mov_b64 vcc, s[4:5]
	v_div_fmas_f64 v[44:45], v[44:45], v[48:49], v[56:57]
	v_div_fixup_f64 v[30:31], v[42:43], v[32:33], v[30:31]
	v_div_fixup_f64 v[44:45], v[44:45], v[32:33], v[27:28]
	v_cvt_f64_f32_e32 v[32:33], v29
	v_mul_f64 v[27:28], v[44:45], v[27:28]
	v_fma_f64 v[27:28], v[30:31], v[32:33], -v[27:28]
	v_cvt_f32_f64_e32 v24, v[27:28]
	v_mov_b32_e32 v27, -1
.LBB6_192:                              ;   in Loop: Header=BB6_133 Depth=2
	s_or_b64 exec, exec, s[6:7]
	v_cmp_nle_f32_e64 s[4:5], 0, v25
	v_cndmask_b32_e64 v26, v26, -v26, s[4:5]
	v_add_f32_e32 v25, v25, v26
	v_cmp_ngt_f32_e64 s[6:7], |v25|, |v20|
                                        ; implicit-def: $vgpr26
                                        ; implicit-def: $vgpr28
	s_and_saveexec_b64 s[66:67], s[6:7]
	s_xor_b64 s[66:67], exec, s[66:67]
	s_cbranch_execz .LBB6_196
; %bb.193:                              ;   in Loop: Header=BB6_133 Depth=2
	v_mov_b32_e32 v26, 0
	v_cmp_neq_f32_e32 vcc, 0, v20
	v_mov_b32_e32 v28, 1.0
	s_and_saveexec_b64 s[68:69], vcc
	s_cbranch_execz .LBB6_195
; %bb.194:                              ;   in Loop: Header=BB6_133 Depth=2
	v_div_scale_f32 v26, s[6:7], v20, v20, -v25
	v_div_scale_f32 v28, vcc, -v25, v20, -v25
	v_rcp_f32_e32 v29, v26
	v_fma_f32 v30, -v26, v29, 1.0
	v_fmac_f32_e32 v29, v30, v29
	v_mul_f32_e32 v30, v28, v29
	v_fma_f32 v31, -v26, v30, v28
	v_fmac_f32_e32 v30, v31, v29
	v_fma_f32 v26, -v26, v30, v28
	v_div_fmas_f32 v26, v26, v29, v30
	v_div_fixup_f32 v20, v26, v20, -v25
	v_fma_f32 v25, v20, v20, 1.0
	v_mul_f32_e32 v26, 0x4f800000, v25
	v_cmp_gt_f32_e32 vcc, s50, v25
	v_cndmask_b32_e32 v25, v25, v26, vcc
	v_sqrt_f32_e32 v26, v25
	v_add_u32_e32 v28, -1, v26
	v_add_u32_e32 v29, 1, v26
	v_fma_f32 v30, -v28, v26, v25
	v_fma_f32 v31, -v29, v26, v25
	v_cmp_ge_f32_e64 s[6:7], 0, v30
	v_cndmask_b32_e64 v26, v26, v28, s[6:7]
	v_cmp_lt_f32_e64 s[6:7], 0, v31
	v_cndmask_b32_e64 v26, v26, v29, s[6:7]
	v_mul_f32_e32 v28, 0x37800000, v26
	v_cndmask_b32_e32 v26, v26, v28, vcc
	v_cmp_class_f32_e32 vcc, v25, v38
	v_cndmask_b32_e32 v25, v26, v25, vcc
	v_div_scale_f32 v26, s[6:7], v25, v25, 1.0
	v_div_scale_f32 v28, vcc, 1.0, v25, 1.0
	v_rcp_f32_e32 v29, v26
	v_fma_f32 v30, -v26, v29, 1.0
	v_fmac_f32_e32 v29, v30, v29
	v_mul_f32_e32 v30, v28, v29
	v_fma_f32 v31, -v26, v30, v28
	v_fmac_f32_e32 v30, v31, v29
	v_fma_f32 v26, -v26, v30, v28
	v_div_fmas_f32 v26, v26, v29, v30
	v_div_fixup_f32 v28, v26, v25, 1.0
	v_mul_f32_e32 v26, v20, v28
.LBB6_195:                              ;   in Loop: Header=BB6_133 Depth=2
	s_or_b64 exec, exec, s[68:69]
                                        ; implicit-def: $vgpr25
                                        ; implicit-def: $vgpr20
.LBB6_196:                              ;   in Loop: Header=BB6_133 Depth=2
	s_andn2_saveexec_b64 s[66:67], s[66:67]
	s_cbranch_execz .LBB6_198
; %bb.197:                              ;   in Loop: Header=BB6_133 Depth=2
	v_div_scale_f32 v26, s[6:7], v25, v25, -v20
	v_div_scale_f32 v28, vcc, -v20, v25, -v20
	v_rcp_f32_e32 v29, v26
	v_fma_f32 v30, -v26, v29, 1.0
	v_fmac_f32_e32 v29, v30, v29
	v_mul_f32_e32 v30, v28, v29
	v_fma_f32 v31, -v26, v30, v28
	v_fmac_f32_e32 v30, v31, v29
	v_fma_f32 v26, -v26, v30, v28
	v_div_fmas_f32 v26, v26, v29, v30
	v_div_fixup_f32 v20, v26, v25, -v20
	v_fma_f32 v25, v20, v20, 1.0
	v_mul_f32_e32 v26, 0x4f800000, v25
	v_cmp_gt_f32_e32 vcc, s50, v25
	v_cndmask_b32_e32 v25, v25, v26, vcc
	v_sqrt_f32_e32 v26, v25
	v_add_u32_e32 v28, -1, v26
	v_add_u32_e32 v29, 1, v26
	v_fma_f32 v30, -v28, v26, v25
	v_fma_f32 v31, -v29, v26, v25
	v_cmp_ge_f32_e64 s[6:7], 0, v30
	v_cndmask_b32_e64 v26, v26, v28, s[6:7]
	v_cmp_lt_f32_e64 s[6:7], 0, v31
	v_cndmask_b32_e64 v26, v26, v29, s[6:7]
	v_mul_f32_e32 v28, 0x37800000, v26
	v_cndmask_b32_e32 v26, v26, v28, vcc
	v_cmp_class_f32_e32 vcc, v25, v38
	v_cndmask_b32_e32 v25, v26, v25, vcc
	v_div_scale_f32 v26, s[6:7], v25, v25, 1.0
	v_div_scale_f32 v28, vcc, 1.0, v25, 1.0
	v_rcp_f32_e32 v29, v26
	v_fma_f32 v30, -v26, v29, 1.0
	v_fmac_f32_e32 v29, v30, v29
	v_mul_f32_e32 v30, v28, v29
	v_fma_f32 v31, -v26, v30, v28
	v_fmac_f32_e32 v30, v31, v29
	v_fma_f32 v26, -v26, v30, v28
	v_div_fmas_f32 v26, v26, v29, v30
	v_div_fixup_f32 v26, v26, v25, 1.0
	v_mul_f32_e32 v28, v20, v26
.LBB6_198:                              ;   in Loop: Header=BB6_133 Depth=2
	s_or_b64 exec, exec, s[66:67]
	v_cndmask_b32_e64 v20, 1, -1, s[4:5]
	v_cmp_eq_u32_e32 vcc, v27, v20
	v_cndmask_b32_e64 v20, v28, -v26, vcc
	v_cndmask_b32_e32 v25, v26, v28, vcc
	v_mov_b32_e32 v26, s89
	v_add_co_u32_e32 v18, vcc, s88, v18
	v_addc_co_u32_e32 v19, vcc, v26, v19, vcc
	global_store_dword v[18:19], v20, off
	v_mov_b32_e32 v20, s49
	v_add_co_u32_e32 v18, vcc, s48, v18
	v_addc_co_u32_e32 v19, vcc, v19, v20, vcc
	global_store_dword v[18:19], v25, off offset:-4
	global_store_dwordx2 v[16:17], v[23:24], off offset:-4
	v_mov_b32_e32 v17, s33
	v_add_co_u32_e32 v16, vcc, s14, v21
	v_addc_co_u32_e32 v17, vcc, v17, v22, vcc
	v_add_u32_e32 v15, -2, v15
	global_store_dword v[16:17], v34, off offset:-4
	ds_write_b32 v34, v15
	s_or_b64 exec, exec, s[64:65]
                                        ; implicit-def: $vgpr20
.LBB6_199:                              ;   in Loop: Header=BB6_133 Depth=2
	s_andn2_saveexec_b64 s[4:5], s[62:63]
.LBB6_200:                              ;   in Loop: Header=BB6_133 Depth=2
	ds_write_b32 v34, v20
.LBB6_201:                              ;   in Loop: Header=BB6_133 Depth=2
	s_or_b64 exec, exec, s[4:5]
.LBB6_202:                              ;   in Loop: Header=BB6_133 Depth=2
	s_or_b64 exec, exec, s[8:9]
	s_waitcnt vmcnt(0) lgkmcnt(0)
	s_barrier
	ds_read_b64 v[15:16], v34
	s_waitcnt lgkmcnt(0)
	v_readfirstlane_b32 s6, v16
	v_cmp_eq_u32_e32 vcc, s6, v15
	v_mov_b32_e32 v15, s6
	s_cbranch_vccnz .LBB6_132
; %bb.203:                              ;   in Loop: Header=BB6_133 Depth=2
	s_and_saveexec_b64 s[4:5], s[2:3]
	s_cbranch_execz .LBB6_131
; %bb.204:                              ;   in Loop: Header=BB6_133 Depth=2
	ds_read_b32 v15, v34 offset:16
	s_ashr_i32 s7, s6, 31
	s_lshl_b64 s[62:63], s[6:7], 2
	s_mul_i32 s8, s6, s15
	v_mov_b32_e32 v17, v0
	s_waitcnt lgkmcnt(0)
	v_readfirstlane_b32 s7, v15
	s_sub_i32 s41, s7, s6
	s_add_u32 s6, s88, s62
	s_addc_u32 s7, s89, s63
	s_ashr_i32 s9, s8, 31
	s_lshl_b64 s[62:63], s[8:9], 2
	s_add_u32 s60, s86, s62
	s_addc_u32 s66, s87, s63
	s_cmp_gt_i32 s41, 0
	s_mul_hi_i32 s65, s41, s44
	s_mul_i32 s64, s41, s44
	s_cselect_b64 s[8:9], -1, 0
	s_lshl_b64 s[64:65], s[64:65], 2
	s_add_u32 s67, s60, s64
	v_mov_b32_e32 v16, s63
	v_add_co_u32_e32 v15, vcc, s62, v36
	s_addc_u32 s68, s66, s65
	v_addc_co_u32_e32 v16, vcc, v37, v16, vcc
	s_mov_b64 s[62:63], 0
	s_branch .LBB6_206
.LBB6_205:                              ;   in Loop: Header=BB6_206 Depth=3
	v_mov_b32_e32 v20, s68
	v_add_co_u32_e32 v18, vcc, s67, v18
	v_addc_co_u32_e32 v19, vcc, v20, v19, vcc
	v_add_u32_e32 v17, s34, v17
	v_cmp_le_i32_e32 vcc, s10, v17
	s_waitcnt vmcnt(0)
	global_store_dword v[18:19], v22, off
	v_mov_b32_e32 v18, s47
	s_or_b64 s[62:63], vcc, s[62:63]
	v_add_co_u32_e32 v15, vcc, s46, v15
	v_addc_co_u32_e32 v16, vcc, v16, v18, vcc
	s_andn2_b64 exec, exec, s[62:63]
	s_cbranch_execz .LBB6_131
.LBB6_206:                              ;   Parent Loop BB6_7 Depth=1
                                        ;     Parent Loop BB6_133 Depth=2
                                        ; =>    This Loop Header: Depth=3
                                        ;         Child Loop BB6_207 Depth 4
	v_ashrrev_i32_e32 v18, 31, v17
	v_lshlrev_b64 v[18:19], 2, v[17:18]
	v_mov_b32_e32 v21, s66
	v_add_co_u32_e32 v20, vcc, s60, v18
	v_addc_co_u32_e32 v21, vcc, v21, v19, vcc
	global_load_dword v22, v[20:21], off
	v_mov_b32_e32 v21, v16
	s_andn2_b64 vcc, exec, s[8:9]
	s_mov_b64 s[64:65], s[6:7]
	v_mov_b32_e32 v20, v15
	s_mov_b32 s69, s41
	s_cbranch_vccnz .LBB6_205
.LBB6_207:                              ;   Parent Loop BB6_7 Depth=1
                                        ;     Parent Loop BB6_133 Depth=2
                                        ;       Parent Loop BB6_206 Depth=3
                                        ; =>      This Inner Loop Header: Depth=4
	v_mov_b32_e32 v24, s57
	v_add_co_u32_e32 v23, vcc, s56, v20
	s_add_u32 s70, s64, s11
	v_addc_co_u32_e32 v24, vcc, v21, v24, vcc
	s_addc_u32 s71, s65, s35
	global_load_dword v25, v[23:24], off
	global_load_dword v26, v34, s[70:71]
	global_load_dword v27, v34, s[64:65]
	s_add_i32 s69, s69, -1
	s_add_u32 s64, s64, 4
	s_addc_u32 s65, s65, 0
	s_cmp_eq_u32 s69, 0
	s_waitcnt vmcnt(1)
	v_mul_f32_e32 v28, v26, v25
	s_waitcnt vmcnt(0)
	v_fmac_f32_e32 v28, v22, v27
	v_mul_f32_e32 v26, v22, v26
	global_store_dword v[20:21], v28, off
	v_mov_b32_e32 v20, v23
	v_fma_f32 v22, v27, v25, -v26
	v_mov_b32_e32 v21, v24
	s_cbranch_scc0 .LBB6_207
	s_branch .LBB6_205
.LBB6_208:                              ;   in Loop: Header=BB6_133 Depth=2
	s_or_b64 exec, exec, s[64:65]
                                        ; implicit-def: $vgpr20
	s_andn2_saveexec_b64 s[4:5], s[62:63]
	s_cbranch_execnz .LBB6_200
	s_branch .LBB6_201
.LBB6_209:                              ;   in Loop: Header=BB6_7 Depth=1
	v_mov_b32_e32 v3, v19
	v_mov_b32_e32 v5, v21
	v_mov_b32_e32 v39, v16
	v_mov_b32_e32 v4, v20
	v_mov_b32_e32 v6, v22
.LBB6_210:                              ;   in Loop: Header=BB6_7 Depth=1
	s_barrier
	ds_read_b32 v20, v34 offset:24
	s_waitcnt lgkmcnt(0)
	v_cmp_nlt_f32_e32 vcc, s31, v20
	s_cbranch_vccnz .LBB6_217
; %bb.211:                              ;   in Loop: Header=BB6_7 Depth=1
	v_div_scale_f32 v15, s[4:5], v20, v20, s31
	v_div_scale_f32 v16, vcc, s31, v20, s31
	v_rcp_f32_e32 v17, v15
	v_fma_f32 v18, -v15, v17, 1.0
	v_fmac_f32_e32 v17, v18, v17
	v_mul_f32_e32 v18, v16, v17
	v_fma_f32 v19, -v15, v18, v16
	v_fmac_f32_e32 v18, v19, v17
	v_fma_f32 v15, -v15, v18, v16
	v_div_fmas_f32 v17, v15, v17, v18
	ds_read2_b32 v[15:16], v34 offset0:4 offset1:8
	v_div_fixup_f32 v21, v17, v20, s31
	s_and_saveexec_b64 s[4:5], s[0:1]
	s_cbranch_execz .LBB6_213
; %bb.212:                              ;   in Loop: Header=BB6_7 Depth=1
	s_waitcnt lgkmcnt(0)
	v_ashrrev_i32_e32 v18, 31, v16
	v_mov_b32_e32 v17, v16
	v_lshlrev_b64 v[17:18], 2, v[17:18]
	v_mov_b32_e32 v19, s23
	v_add_co_u32_e32 v17, vcc, s22, v17
	v_addc_co_u32_e32 v18, vcc, v19, v18, vcc
	global_load_dword v19, v[17:18], off
	s_waitcnt vmcnt(0)
	v_mul_f32_e32 v19, v21, v19
	global_store_dword v[17:18], v19, off
.LBB6_213:                              ;   in Loop: Header=BB6_7 Depth=1
	s_or_b64 exec, exec, s[4:5]
	s_waitcnt lgkmcnt(0)
	v_add_u32_e32 v17, v15, v0
	v_cmp_lt_i32_e32 vcc, v17, v16
	s_and_saveexec_b64 s[4:5], vcc
	s_cbranch_execz .LBB6_216
; %bb.214:                              ;   in Loop: Header=BB6_7 Depth=1
	v_ashrrev_i32_e32 v18, 31, v17
	v_lshlrev_b64 v[18:19], 2, v[17:18]
	s_mov_b64 s[6:7], 0
.LBB6_215:                              ;   Parent Loop BB6_7 Depth=1
                                        ; =>  This Inner Loop Header: Depth=2
	v_mov_b32_e32 v15, s23
	v_add_co_u32_e32 v22, vcc, s22, v18
	v_addc_co_u32_e32 v23, vcc, v15, v19, vcc
	global_load_dword v15, v[22:23], off
	v_mov_b32_e32 v25, s33
	v_add_co_u32_e32 v24, vcc, s14, v18
	v_addc_co_u32_e32 v25, vcc, v25, v19, vcc
	v_add_co_u32_e32 v18, vcc, s46, v18
	v_add_u32_e32 v17, s34, v17
	s_waitcnt vmcnt(0)
	v_mul_f32_e32 v15, v21, v15
	global_store_dword v[22:23], v15, off
	global_load_dword v15, v[24:25], off
	v_mov_b32_e32 v22, s47
	v_addc_co_u32_e32 v19, vcc, v19, v22, vcc
	v_cmp_ge_i32_e32 vcc, v17, v16
	s_or_b64 s[6:7], vcc, s[6:7]
	s_waitcnt vmcnt(0)
	v_mul_f32_e32 v15, v21, v15
	global_store_dword v[24:25], v15, off
	s_andn2_b64 exec, exec, s[6:7]
	s_cbranch_execnz .LBB6_215
.LBB6_216:                              ;   in Loop: Header=BB6_7 Depth=1
	s_or_b64 exec, exec, s[4:5]
.LBB6_217:                              ;   in Loop: Header=BB6_7 Depth=1
	v_cmp_ngt_f32_e32 vcc, s30, v20
	s_cbranch_vccnz .LBB6_5
; %bb.218:                              ;   in Loop: Header=BB6_7 Depth=1
	v_div_scale_f32 v15, s[4:5], v20, v20, s30
	v_div_scale_f32 v16, vcc, s30, v20, s30
	v_rcp_f32_e32 v17, v15
	v_fma_f32 v18, -v15, v17, 1.0
	v_fmac_f32_e32 v17, v18, v17
	v_mul_f32_e32 v18, v16, v17
	v_fma_f32 v19, -v15, v18, v16
	v_fmac_f32_e32 v18, v19, v17
	v_fma_f32 v15, -v15, v18, v16
	v_div_fmas_f32 v17, v15, v17, v18
	ds_read2_b32 v[15:16], v34 offset0:4 offset1:8
	v_div_fixup_f32 v20, v17, v20, s30
	s_and_saveexec_b64 s[4:5], s[0:1]
	s_cbranch_execz .LBB6_220
; %bb.219:                              ;   in Loop: Header=BB6_7 Depth=1
	s_waitcnt lgkmcnt(0)
	v_ashrrev_i32_e32 v18, 31, v16
	v_mov_b32_e32 v17, v16
	v_lshlrev_b64 v[17:18], 2, v[17:18]
	v_mov_b32_e32 v19, s23
	v_add_co_u32_e32 v17, vcc, s22, v17
	v_addc_co_u32_e32 v18, vcc, v19, v18, vcc
	global_load_dword v19, v[17:18], off
	s_waitcnt vmcnt(0)
	v_mul_f32_e32 v19, v20, v19
	global_store_dword v[17:18], v19, off
.LBB6_220:                              ;   in Loop: Header=BB6_7 Depth=1
	s_or_b64 exec, exec, s[4:5]
	s_waitcnt lgkmcnt(0)
	v_add_u32_e32 v17, v15, v0
	v_cmp_lt_i32_e32 vcc, v17, v16
	s_and_saveexec_b64 s[4:5], vcc
	s_cbranch_execz .LBB6_4
; %bb.221:                              ;   in Loop: Header=BB6_7 Depth=1
	v_ashrrev_i32_e32 v18, 31, v17
	v_lshlrev_b64 v[18:19], 2, v[17:18]
	s_mov_b64 s[6:7], 0
.LBB6_222:                              ;   Parent Loop BB6_7 Depth=1
                                        ; =>  This Inner Loop Header: Depth=2
	v_mov_b32_e32 v15, s23
	v_add_co_u32_e32 v21, vcc, s22, v18
	v_addc_co_u32_e32 v22, vcc, v15, v19, vcc
	global_load_dword v15, v[21:22], off
	v_mov_b32_e32 v24, s33
	v_add_co_u32_e32 v23, vcc, s14, v18
	v_addc_co_u32_e32 v24, vcc, v24, v19, vcc
	v_add_co_u32_e32 v18, vcc, s46, v18
	v_add_u32_e32 v17, s34, v17
	s_waitcnt vmcnt(0)
	v_mul_f32_e32 v15, v20, v15
	global_store_dword v[21:22], v15, off
	global_load_dword v15, v[23:24], off
	v_mov_b32_e32 v21, s47
	v_addc_co_u32_e32 v19, vcc, v19, v21, vcc
	v_cmp_ge_i32_e32 vcc, v17, v16
	s_or_b64 s[6:7], vcc, s[6:7]
	s_waitcnt vmcnt(0)
	v_mul_f32_e32 v15, v20, v15
	global_store_dword v[23:24], v15, off
	s_andn2_b64 exec, exec, s[6:7]
	s_cbranch_execnz .LBB6_222
	s_branch .LBB6_4
.LBB6_223:
	v_cmp_gt_i32_e32 vcc, s40, v0
	s_and_saveexec_b64 s[2:3], vcc
	s_cbranch_execz .LBB6_229
; %bb.224:
	s_lshl_b64 s[4:5], s[38:39], 2
	s_add_u32 s4, s18, s4
	s_addc_u32 s5, s19, s5
	s_lshl_b64 s[6:7], s[42:43], 2
	v_ashrrev_i32_e32 v1, 31, v0
	v_lshlrev_b64 v[1:2], 2, v[0:1]
	s_add_u32 s6, s24, s6
	s_addc_u32 s7, s25, s7
	s_ashr_i32 s35, s34, 31
	v_mov_b32_e32 v3, s7
	v_add_co_u32_e32 v1, vcc, s6, v1
	s_lshl_b64 s[6:7], s[34:35], 2
	v_addc_co_u32_e32 v2, vcc, v3, v2, vcc
	s_mov_b64 s[8:9], 0
	v_mov_b32_e32 v3, 0
	v_mov_b32_e32 v4, s7
	s_branch .LBB6_226
.LBB6_225:                              ;   in Loop: Header=BB6_226 Depth=1
	s_or_b64 exec, exec, s[18:19]
	v_add_u32_e32 v0, s34, v0
	v_cmp_le_i32_e32 vcc, s40, v0
	s_or_b64 s[8:9], vcc, s[8:9]
	v_add_co_u32_e32 v1, vcc, s6, v1
	v_addc_co_u32_e32 v2, vcc, v2, v4, vcc
	s_andn2_b64 exec, exec, s[8:9]
	s_cbranch_execz .LBB6_229
.LBB6_226:                              ; =>This Inner Loop Header: Depth=1
	global_load_dword v5, v[1:2], off
	s_waitcnt vmcnt(0)
	v_cmp_neq_f32_e32 vcc, 0, v5
	s_and_saveexec_b64 s[18:19], vcc
	s_cbranch_execz .LBB6_225
; %bb.227:                              ;   in Loop: Header=BB6_226 Depth=1
	s_mov_b64 s[24:25], exec
	v_mbcnt_lo_u32_b32 v5, s24, 0
	v_mbcnt_hi_u32_b32 v5, s25, v5
	v_cmp_eq_u32_e32 vcc, 0, v5
	s_and_b64 s[28:29], exec, vcc
	s_mov_b64 exec, s[28:29]
	s_cbranch_execz .LBB6_225
; %bb.228:                              ;   in Loop: Header=BB6_226 Depth=1
	s_bcnt1_i32_b64 s7, s[24:25]
	v_mov_b32_e32 v5, s7
	global_atomic_add v3, v5, s[4:5]
	s_branch .LBB6_225
.LBB6_229:
	s_or_b64 exec, exec, s[2:3]
	s_cmp_lt_i32 s10, 2
	s_cbranch_scc1 .LBB6_242
; %bb.230:
	s_add_u32 s2, s20, s36
	s_addc_u32 s3, s21, s37
	s_add_u32 s2, s2, 4
	s_addc_u32 s3, s3, 0
	s_lshl_b64 s[4:5], s[16:17], 2
	s_lshl_b64 s[6:7], s[26:27], 2
	s_add_u32 s4, s4, s6
	s_addc_u32 s5, s5, s7
	s_add_u32 s11, s12, s4
	s_addc_u32 s14, s13, s5
	s_mov_b32 s4, 1
	v_mov_b32_e32 v0, 0
	s_branch .LBB6_232
.LBB6_231:                              ;   in Loop: Header=BB6_232 Depth=1
	s_add_i32 s4, s4, 1
	s_add_u32 s2, s2, 4
	s_addc_u32 s3, s3, 0
	s_cmp_lg_u32 s4, s10
	s_waitcnt vmcnt(0)
	s_barrier
	s_cbranch_scc0 .LBB6_242
.LBB6_232:                              ; =>This Loop Header: Depth=1
                                        ;     Child Loop BB6_235 Depth 2
                                        ;     Child Loop BB6_241 Depth 2
	s_and_saveexec_b64 s[6:7], s[0:1]
	s_cbranch_execz .LBB6_239
; %bb.233:                              ;   in Loop: Header=BB6_232 Depth=1
	s_ashr_i32 s5, s4, 31
	s_add_i32 s13, s4, -1
	s_lshl_b64 s[8:9], s[4:5], 2
	s_add_u32 s8, s22, s8
	s_addc_u32 s9, s23, s9
	global_load_dword v1, v0, s[8:9] offset:-4
	v_mov_b32_e32 v2, s13
	v_mov_b32_e32 v3, s13
	s_mov_b64 s[16:17], s[2:3]
	s_mov_b32 s5, s4
	s_mov_b32 s12, s13
	ds_write_b64 v0, v[2:3]
	s_waitcnt vmcnt(0)
	ds_write_b32 v0, v1 offset:8
	v_mov_b32_e32 v2, v1
	s_branch .LBB6_235
.LBB6_234:                              ;   in Loop: Header=BB6_235 Depth=2
	s_add_i32 s5, s5, 1
	s_add_u32 s16, s16, 4
	s_addc_u32 s17, s17, 0
	s_cmp_eq_u32 s10, s5
	s_cbranch_scc1 .LBB6_237
.LBB6_235:                              ;   Parent Loop BB6_232 Depth=1
                                        ; =>  This Inner Loop Header: Depth=2
	global_load_dword v3, v0, s[16:17]
	s_waitcnt vmcnt(0)
	v_cmp_nlt_f32_e32 vcc, v3, v2
	s_cbranch_vccnz .LBB6_234
; %bb.236:                              ;   in Loop: Header=BB6_235 Depth=2
	v_mov_b32_e32 v2, s5
	ds_write2_b32 v0, v2, v3 offset0:1 offset1:2
	s_mov_b32 s12, s5
	v_mov_b32_e32 v2, v3
	s_branch .LBB6_234
.LBB6_237:                              ;   in Loop: Header=BB6_232 Depth=1
	s_cmp_lg_u32 s12, s13
	s_cbranch_scc0 .LBB6_239
; %bb.238:                              ;   in Loop: Header=BB6_232 Depth=1
	s_ashr_i32 s13, s12, 31
	s_lshl_b64 s[12:13], s[12:13], 2
	s_add_u32 s12, s22, s12
	s_addc_u32 s13, s23, s13
	global_store_dword v0, v1, s[12:13]
	global_store_dword v0, v2, s[8:9] offset:-4
.LBB6_239:                              ;   in Loop: Header=BB6_232 Depth=1
	s_or_b64 exec, exec, s[6:7]
	s_waitcnt vmcnt(0) lgkmcnt(0)
	s_barrier
	ds_read_b64 v[1:2], v0
	s_waitcnt lgkmcnt(0)
	v_readfirstlane_b32 s5, v1
	v_readfirstlane_b32 s6, v2
	s_cmp_eq_u32 s6, s5
	s_cbranch_scc1 .LBB6_231
; %bb.240:                              ;   in Loop: Header=BB6_232 Depth=1
	s_mul_i32 s6, s6, s15
	s_ashr_i32 s7, s6, 31
	s_lshl_b64 s[6:7], s[6:7], 2
	s_mul_i32 s8, s5, s15
	s_add_u32 s6, s11, s6
	s_addc_u32 s7, s14, s7
	s_ashr_i32 s9, s8, 31
	s_lshl_b64 s[8:9], s[8:9], 2
	s_add_u32 s8, s11, s8
	s_addc_u32 s9, s14, s9
	s_mov_b32 s5, s10
.LBB6_241:                              ;   Parent Loop BB6_232 Depth=1
                                        ; =>  This Inner Loop Header: Depth=2
	global_load_dword v1, v0, s[6:7]
	global_load_dword v2, v0, s[8:9]
	s_add_i32 s5, s5, -1
	s_waitcnt vmcnt(1)
	global_store_dword v0, v1, s[8:9]
	s_waitcnt vmcnt(1)
	global_store_dword v0, v2, s[6:7]
	s_add_u32 s6, s6, 4
	s_addc_u32 s7, s7, 0
	s_add_u32 s8, s8, 4
	s_addc_u32 s9, s9, 0
	s_cmp_lg_u32 s5, 0
	s_cbranch_scc1 .LBB6_241
	s_branch .LBB6_231
.LBB6_242:
	s_endpgm
	.section	.rodata,"a",@progbits
	.p2align	6, 0x0
	.amdhsa_kernel _ZN9rocsolver6v33100L12steqr_kernelIffPfEEviPT0_lS4_lT1_iilPiS4_iS3_S3_S3_
		.amdhsa_group_segment_fixed_size 36
		.amdhsa_private_segment_fixed_size 0
		.amdhsa_kernarg_size 352
		.amdhsa_user_sgpr_count 6
		.amdhsa_user_sgpr_private_segment_buffer 1
		.amdhsa_user_sgpr_dispatch_ptr 0
		.amdhsa_user_sgpr_queue_ptr 0
		.amdhsa_user_sgpr_kernarg_segment_ptr 1
		.amdhsa_user_sgpr_dispatch_id 0
		.amdhsa_user_sgpr_flat_scratch_init 0
		.amdhsa_user_sgpr_private_segment_size 0
		.amdhsa_uses_dynamic_stack 0
		.amdhsa_system_sgpr_private_segment_wavefront_offset 0
		.amdhsa_system_sgpr_workgroup_id_x 1
		.amdhsa_system_sgpr_workgroup_id_y 1
		.amdhsa_system_sgpr_workgroup_id_z 0
		.amdhsa_system_sgpr_workgroup_info 0
		.amdhsa_system_vgpr_workitem_id 0
		.amdhsa_next_free_vgpr 61
		.amdhsa_next_free_sgpr 96
		.amdhsa_reserve_vcc 1
		.amdhsa_reserve_flat_scratch 0
		.amdhsa_float_round_mode_32 0
		.amdhsa_float_round_mode_16_64 0
		.amdhsa_float_denorm_mode_32 3
		.amdhsa_float_denorm_mode_16_64 3
		.amdhsa_dx10_clamp 1
		.amdhsa_ieee_mode 1
		.amdhsa_fp16_overflow 0
		.amdhsa_exception_fp_ieee_invalid_op 0
		.amdhsa_exception_fp_denorm_src 0
		.amdhsa_exception_fp_ieee_div_zero 0
		.amdhsa_exception_fp_ieee_overflow 0
		.amdhsa_exception_fp_ieee_underflow 0
		.amdhsa_exception_fp_ieee_inexact 0
		.amdhsa_exception_int_div_zero 0
	.end_amdhsa_kernel
	.section	.text._ZN9rocsolver6v33100L12steqr_kernelIffPfEEviPT0_lS4_lT1_iilPiS4_iS3_S3_S3_,"axG",@progbits,_ZN9rocsolver6v33100L12steqr_kernelIffPfEEviPT0_lS4_lT1_iilPiS4_iS3_S3_S3_,comdat
.Lfunc_end6:
	.size	_ZN9rocsolver6v33100L12steqr_kernelIffPfEEviPT0_lS4_lT1_iilPiS4_iS3_S3_S3_, .Lfunc_end6-_ZN9rocsolver6v33100L12steqr_kernelIffPfEEviPT0_lS4_lT1_iilPiS4_iS3_S3_S3_
                                        ; -- End function
	.set _ZN9rocsolver6v33100L12steqr_kernelIffPfEEviPT0_lS4_lT1_iilPiS4_iS3_S3_S3_.num_vgpr, 61
	.set _ZN9rocsolver6v33100L12steqr_kernelIffPfEEviPT0_lS4_lT1_iilPiS4_iS3_S3_S3_.num_agpr, 0
	.set _ZN9rocsolver6v33100L12steqr_kernelIffPfEEviPT0_lS4_lT1_iilPiS4_iS3_S3_S3_.numbered_sgpr, 96
	.set _ZN9rocsolver6v33100L12steqr_kernelIffPfEEviPT0_lS4_lT1_iilPiS4_iS3_S3_S3_.num_named_barrier, 0
	.set _ZN9rocsolver6v33100L12steqr_kernelIffPfEEviPT0_lS4_lT1_iilPiS4_iS3_S3_S3_.private_seg_size, 0
	.set _ZN9rocsolver6v33100L12steqr_kernelIffPfEEviPT0_lS4_lT1_iilPiS4_iS3_S3_S3_.uses_vcc, 1
	.set _ZN9rocsolver6v33100L12steqr_kernelIffPfEEviPT0_lS4_lT1_iilPiS4_iS3_S3_S3_.uses_flat_scratch, 0
	.set _ZN9rocsolver6v33100L12steqr_kernelIffPfEEviPT0_lS4_lT1_iilPiS4_iS3_S3_S3_.has_dyn_sized_stack, 0
	.set _ZN9rocsolver6v33100L12steqr_kernelIffPfEEviPT0_lS4_lT1_iilPiS4_iS3_S3_S3_.has_recursion, 0
	.set _ZN9rocsolver6v33100L12steqr_kernelIffPfEEviPT0_lS4_lT1_iilPiS4_iS3_S3_S3_.has_indirect_call, 0
	.section	.AMDGPU.csdata,"",@progbits
; Kernel info:
; codeLenInByte = 13012
; TotalNumSgprs: 100
; NumVgprs: 61
; ScratchSize: 0
; MemoryBound: 0
; FloatMode: 240
; IeeeMode: 1
; LDSByteSize: 36 bytes/workgroup (compile time only)
; SGPRBlocks: 12
; VGPRBlocks: 15
; NumSGPRsForWavesPerEU: 100
; NumVGPRsForWavesPerEU: 61
; Occupancy: 4
; WaveLimiterHint : 0
; COMPUTE_PGM_RSRC2:SCRATCH_EN: 0
; COMPUTE_PGM_RSRC2:USER_SGPR: 6
; COMPUTE_PGM_RSRC2:TRAP_HANDLER: 0
; COMPUTE_PGM_RSRC2:TGID_X_EN: 1
; COMPUTE_PGM_RSRC2:TGID_Y_EN: 1
; COMPUTE_PGM_RSRC2:TGID_Z_EN: 0
; COMPUTE_PGM_RSRC2:TIDIG_COMP_CNT: 0
	.section	.text._ZN9rocsolver6v33100L16reset_batch_infoIdiiPdEEvT2_lT0_T1_,"axG",@progbits,_ZN9rocsolver6v33100L16reset_batch_infoIdiiPdEEvT2_lT0_T1_,comdat
	.globl	_ZN9rocsolver6v33100L16reset_batch_infoIdiiPdEEvT2_lT0_T1_ ; -- Begin function _ZN9rocsolver6v33100L16reset_batch_infoIdiiPdEEvT2_lT0_T1_
	.p2align	8
	.type	_ZN9rocsolver6v33100L16reset_batch_infoIdiiPdEEvT2_lT0_T1_,@function
_ZN9rocsolver6v33100L16reset_batch_infoIdiiPdEEvT2_lT0_T1_: ; @_ZN9rocsolver6v33100L16reset_batch_infoIdiiPdEEvT2_lT0_T1_
; %bb.0:
	s_load_dword s2, s[4:5], 0x24
	s_load_dwordx2 s[0:1], s[4:5], 0x10
	s_waitcnt lgkmcnt(0)
	s_and_b32 s2, s2, 0xffff
	s_mul_i32 s6, s6, s2
	v_add_u32_e32 v0, s6, v0
	v_cmp_gt_i32_e32 vcc, s0, v0
	s_and_saveexec_b64 s[2:3], vcc
	s_cbranch_execz .LBB7_2
; %bb.1:
	s_load_dwordx4 s[8:11], s[4:5], 0x0
	s_ashr_i32 s0, s7, 31
	v_ashrrev_i32_e32 v1, 31, v0
	v_lshlrev_b64 v[0:1], 3, v[0:1]
	v_cvt_f64_i32_e32 v[2:3], s1
	s_waitcnt lgkmcnt(0)
	s_mul_hi_u32 s3, s10, s7
	s_mul_i32 s0, s10, s0
	s_mul_i32 s4, s11, s7
	s_add_i32 s0, s3, s0
	s_mul_i32 s2, s10, s7
	s_add_i32 s3, s0, s4
	s_lshl_b64 s[2:3], s[2:3], 3
	s_add_u32 s0, s8, s2
	s_addc_u32 s2, s9, s3
	v_mov_b32_e32 v4, s2
	v_add_co_u32_e32 v0, vcc, s0, v0
	v_addc_co_u32_e32 v1, vcc, v4, v1, vcc
	global_store_dwordx2 v[0:1], v[2:3], off
.LBB7_2:
	s_endpgm
	.section	.rodata,"a",@progbits
	.p2align	6, 0x0
	.amdhsa_kernel _ZN9rocsolver6v33100L16reset_batch_infoIdiiPdEEvT2_lT0_T1_
		.amdhsa_group_segment_fixed_size 0
		.amdhsa_private_segment_fixed_size 0
		.amdhsa_kernarg_size 280
		.amdhsa_user_sgpr_count 6
		.amdhsa_user_sgpr_private_segment_buffer 1
		.amdhsa_user_sgpr_dispatch_ptr 0
		.amdhsa_user_sgpr_queue_ptr 0
		.amdhsa_user_sgpr_kernarg_segment_ptr 1
		.amdhsa_user_sgpr_dispatch_id 0
		.amdhsa_user_sgpr_flat_scratch_init 0
		.amdhsa_user_sgpr_private_segment_size 0
		.amdhsa_uses_dynamic_stack 0
		.amdhsa_system_sgpr_private_segment_wavefront_offset 0
		.amdhsa_system_sgpr_workgroup_id_x 1
		.amdhsa_system_sgpr_workgroup_id_y 1
		.amdhsa_system_sgpr_workgroup_id_z 0
		.amdhsa_system_sgpr_workgroup_info 0
		.amdhsa_system_vgpr_workitem_id 0
		.amdhsa_next_free_vgpr 5
		.amdhsa_next_free_sgpr 12
		.amdhsa_reserve_vcc 1
		.amdhsa_reserve_flat_scratch 0
		.amdhsa_float_round_mode_32 0
		.amdhsa_float_round_mode_16_64 0
		.amdhsa_float_denorm_mode_32 3
		.amdhsa_float_denorm_mode_16_64 3
		.amdhsa_dx10_clamp 1
		.amdhsa_ieee_mode 1
		.amdhsa_fp16_overflow 0
		.amdhsa_exception_fp_ieee_invalid_op 0
		.amdhsa_exception_fp_denorm_src 0
		.amdhsa_exception_fp_ieee_div_zero 0
		.amdhsa_exception_fp_ieee_overflow 0
		.amdhsa_exception_fp_ieee_underflow 0
		.amdhsa_exception_fp_ieee_inexact 0
		.amdhsa_exception_int_div_zero 0
	.end_amdhsa_kernel
	.section	.text._ZN9rocsolver6v33100L16reset_batch_infoIdiiPdEEvT2_lT0_T1_,"axG",@progbits,_ZN9rocsolver6v33100L16reset_batch_infoIdiiPdEEvT2_lT0_T1_,comdat
.Lfunc_end7:
	.size	_ZN9rocsolver6v33100L16reset_batch_infoIdiiPdEEvT2_lT0_T1_, .Lfunc_end7-_ZN9rocsolver6v33100L16reset_batch_infoIdiiPdEEvT2_lT0_T1_
                                        ; -- End function
	.set _ZN9rocsolver6v33100L16reset_batch_infoIdiiPdEEvT2_lT0_T1_.num_vgpr, 5
	.set _ZN9rocsolver6v33100L16reset_batch_infoIdiiPdEEvT2_lT0_T1_.num_agpr, 0
	.set _ZN9rocsolver6v33100L16reset_batch_infoIdiiPdEEvT2_lT0_T1_.numbered_sgpr, 12
	.set _ZN9rocsolver6v33100L16reset_batch_infoIdiiPdEEvT2_lT0_T1_.num_named_barrier, 0
	.set _ZN9rocsolver6v33100L16reset_batch_infoIdiiPdEEvT2_lT0_T1_.private_seg_size, 0
	.set _ZN9rocsolver6v33100L16reset_batch_infoIdiiPdEEvT2_lT0_T1_.uses_vcc, 1
	.set _ZN9rocsolver6v33100L16reset_batch_infoIdiiPdEEvT2_lT0_T1_.uses_flat_scratch, 0
	.set _ZN9rocsolver6v33100L16reset_batch_infoIdiiPdEEvT2_lT0_T1_.has_dyn_sized_stack, 0
	.set _ZN9rocsolver6v33100L16reset_batch_infoIdiiPdEEvT2_lT0_T1_.has_recursion, 0
	.set _ZN9rocsolver6v33100L16reset_batch_infoIdiiPdEEvT2_lT0_T1_.has_indirect_call, 0
	.section	.AMDGPU.csdata,"",@progbits
; Kernel info:
; codeLenInByte = 140
; TotalNumSgprs: 16
; NumVgprs: 5
; ScratchSize: 0
; MemoryBound: 0
; FloatMode: 240
; IeeeMode: 1
; LDSByteSize: 0 bytes/workgroup (compile time only)
; SGPRBlocks: 1
; VGPRBlocks: 1
; NumSGPRsForWavesPerEU: 16
; NumVGPRsForWavesPerEU: 5
; Occupancy: 10
; WaveLimiterHint : 0
; COMPUTE_PGM_RSRC2:SCRATCH_EN: 0
; COMPUTE_PGM_RSRC2:USER_SGPR: 6
; COMPUTE_PGM_RSRC2:TRAP_HANDLER: 0
; COMPUTE_PGM_RSRC2:TGID_X_EN: 1
; COMPUTE_PGM_RSRC2:TGID_Y_EN: 1
; COMPUTE_PGM_RSRC2:TGID_Z_EN: 0
; COMPUTE_PGM_RSRC2:TIDIG_COMP_CNT: 0
	.section	.text._ZN9rocsolver6v33100L10init_identIdPdEEviiT0_iil,"axG",@progbits,_ZN9rocsolver6v33100L10init_identIdPdEEviiT0_iil,comdat
	.globl	_ZN9rocsolver6v33100L10init_identIdPdEEviiT0_iil ; -- Begin function _ZN9rocsolver6v33100L10init_identIdPdEEviiT0_iil
	.p2align	8
	.type	_ZN9rocsolver6v33100L10init_identIdPdEEviiT0_iil,@function
_ZN9rocsolver6v33100L10init_identIdPdEEviiT0_iil: ; @_ZN9rocsolver6v33100L10init_identIdPdEEviiT0_iil
; %bb.0:
	s_load_dword s2, s[4:5], 0x2c
	s_load_dwordx2 s[0:1], s[4:5], 0x0
	s_waitcnt lgkmcnt(0)
	s_lshr_b32 s3, s2, 16
	s_and_b32 s2, s2, 0xffff
	s_mul_i32 s6, s6, s2
	s_mul_i32 s7, s7, s3
	v_add_u32_e32 v4, s6, v0
	v_add_u32_e32 v1, s7, v1
	v_cmp_gt_u32_e32 vcc, s0, v4
	v_cmp_gt_u32_e64 s[0:1], s1, v1
	s_and_b64 s[0:1], vcc, s[0:1]
	s_and_saveexec_b64 s[2:3], s[0:1]
	s_cbranch_execz .LBB8_6
; %bb.1:
	s_load_dwordx2 s[0:1], s[4:5], 0x10
	v_cmp_ne_u32_e32 vcc, v4, v1
                                        ; implicit-def: $vgpr0
	s_and_saveexec_b64 s[2:3], vcc
	s_xor_b64 s[2:3], exec, s[2:3]
	s_cbranch_execz .LBB8_3
; %bb.2:
	s_waitcnt lgkmcnt(0)
	v_mad_u64_u32 v[0:1], s[6:7], v1, s1, v[4:5]
                                        ; implicit-def: $vgpr4
.LBB8_3:
	s_or_saveexec_b64 s[2:3], s[2:3]
	v_mov_b32_e32 v2, 0
	v_mov_b32_e32 v3, 0
	s_xor_b64 exec, exec, s[2:3]
	s_cbranch_execz .LBB8_5
; %bb.4:
	s_waitcnt lgkmcnt(0)
	v_mad_u64_u32 v[0:1], s[6:7], v4, s1, v[4:5]
	v_mov_b32_e32 v2, 0
	v_mov_b32_e32 v3, 0x3ff00000
.LBB8_5:
	s_or_b64 exec, exec, s[2:3]
	s_load_dwordx2 s[2:3], s[4:5], 0x18
	s_load_dwordx2 s[6:7], s[4:5], 0x8
	s_waitcnt lgkmcnt(0)
	s_ashr_i32 s1, s0, 31
	v_mov_b32_e32 v1, 0
	v_lshlrev_b64 v[0:1], 3, v[0:1]
	s_mul_i32 s3, s3, s8
	s_mul_hi_u32 s4, s2, s8
	s_mul_i32 s2, s2, s8
	s_add_i32 s3, s4, s3
	s_lshl_b64 s[2:3], s[2:3], 3
	s_add_u32 s2, s6, s2
	s_addc_u32 s3, s7, s3
	s_lshl_b64 s[0:1], s[0:1], 3
	s_add_u32 s0, s2, s0
	s_addc_u32 s1, s3, s1
	v_mov_b32_e32 v4, s1
	v_add_co_u32_e32 v0, vcc, s0, v0
	v_addc_co_u32_e32 v1, vcc, v4, v1, vcc
	global_store_dwordx2 v[0:1], v[2:3], off
.LBB8_6:
	s_endpgm
	.section	.rodata,"a",@progbits
	.p2align	6, 0x0
	.amdhsa_kernel _ZN9rocsolver6v33100L10init_identIdPdEEviiT0_iil
		.amdhsa_group_segment_fixed_size 0
		.amdhsa_private_segment_fixed_size 0
		.amdhsa_kernarg_size 288
		.amdhsa_user_sgpr_count 6
		.amdhsa_user_sgpr_private_segment_buffer 1
		.amdhsa_user_sgpr_dispatch_ptr 0
		.amdhsa_user_sgpr_queue_ptr 0
		.amdhsa_user_sgpr_kernarg_segment_ptr 1
		.amdhsa_user_sgpr_dispatch_id 0
		.amdhsa_user_sgpr_flat_scratch_init 0
		.amdhsa_user_sgpr_private_segment_size 0
		.amdhsa_uses_dynamic_stack 0
		.amdhsa_system_sgpr_private_segment_wavefront_offset 0
		.amdhsa_system_sgpr_workgroup_id_x 1
		.amdhsa_system_sgpr_workgroup_id_y 1
		.amdhsa_system_sgpr_workgroup_id_z 1
		.amdhsa_system_sgpr_workgroup_info 0
		.amdhsa_system_vgpr_workitem_id 1
		.amdhsa_next_free_vgpr 6
		.amdhsa_next_free_sgpr 9
		.amdhsa_reserve_vcc 1
		.amdhsa_reserve_flat_scratch 0
		.amdhsa_float_round_mode_32 0
		.amdhsa_float_round_mode_16_64 0
		.amdhsa_float_denorm_mode_32 3
		.amdhsa_float_denorm_mode_16_64 3
		.amdhsa_dx10_clamp 1
		.amdhsa_ieee_mode 1
		.amdhsa_fp16_overflow 0
		.amdhsa_exception_fp_ieee_invalid_op 0
		.amdhsa_exception_fp_denorm_src 0
		.amdhsa_exception_fp_ieee_div_zero 0
		.amdhsa_exception_fp_ieee_overflow 0
		.amdhsa_exception_fp_ieee_underflow 0
		.amdhsa_exception_fp_ieee_inexact 0
		.amdhsa_exception_int_div_zero 0
	.end_amdhsa_kernel
	.section	.text._ZN9rocsolver6v33100L10init_identIdPdEEviiT0_iil,"axG",@progbits,_ZN9rocsolver6v33100L10init_identIdPdEEviiT0_iil,comdat
.Lfunc_end8:
	.size	_ZN9rocsolver6v33100L10init_identIdPdEEviiT0_iil, .Lfunc_end8-_ZN9rocsolver6v33100L10init_identIdPdEEviiT0_iil
                                        ; -- End function
	.set _ZN9rocsolver6v33100L10init_identIdPdEEviiT0_iil.num_vgpr, 6
	.set _ZN9rocsolver6v33100L10init_identIdPdEEviiT0_iil.num_agpr, 0
	.set _ZN9rocsolver6v33100L10init_identIdPdEEviiT0_iil.numbered_sgpr, 9
	.set _ZN9rocsolver6v33100L10init_identIdPdEEviiT0_iil.num_named_barrier, 0
	.set _ZN9rocsolver6v33100L10init_identIdPdEEviiT0_iil.private_seg_size, 0
	.set _ZN9rocsolver6v33100L10init_identIdPdEEviiT0_iil.uses_vcc, 1
	.set _ZN9rocsolver6v33100L10init_identIdPdEEviiT0_iil.uses_flat_scratch, 0
	.set _ZN9rocsolver6v33100L10init_identIdPdEEviiT0_iil.has_dyn_sized_stack, 0
	.set _ZN9rocsolver6v33100L10init_identIdPdEEviiT0_iil.has_recursion, 0
	.set _ZN9rocsolver6v33100L10init_identIdPdEEviiT0_iil.has_indirect_call, 0
	.section	.AMDGPU.csdata,"",@progbits
; Kernel info:
; codeLenInByte = 256
; TotalNumSgprs: 13
; NumVgprs: 6
; ScratchSize: 0
; MemoryBound: 0
; FloatMode: 240
; IeeeMode: 1
; LDSByteSize: 0 bytes/workgroup (compile time only)
; SGPRBlocks: 1
; VGPRBlocks: 1
; NumSGPRsForWavesPerEU: 13
; NumVGPRsForWavesPerEU: 6
; Occupancy: 10
; WaveLimiterHint : 0
; COMPUTE_PGM_RSRC2:SCRATCH_EN: 0
; COMPUTE_PGM_RSRC2:USER_SGPR: 6
; COMPUTE_PGM_RSRC2:TRAP_HANDLER: 0
; COMPUTE_PGM_RSRC2:TGID_X_EN: 1
; COMPUTE_PGM_RSRC2:TGID_Y_EN: 1
; COMPUTE_PGM_RSRC2:TGID_Z_EN: 1
; COMPUTE_PGM_RSRC2:TIDIG_COMP_CNT: 1
	.section	.text._ZN9rocsolver6v33100L12sterf_kernelIdEEviPT_lS3_lPiS4_iS2_S2_S2_,"axG",@progbits,_ZN9rocsolver6v33100L12sterf_kernelIdEEviPT_lS3_lPiS4_iS2_S2_S2_,comdat
	.globl	_ZN9rocsolver6v33100L12sterf_kernelIdEEviPT_lS3_lPiS4_iS2_S2_S2_ ; -- Begin function _ZN9rocsolver6v33100L12sterf_kernelIdEEviPT_lS3_lPiS4_iS2_S2_S2_
	.p2align	8
	.type	_ZN9rocsolver6v33100L12sterf_kernelIdEEviPT_lS3_lPiS4_iS2_S2_S2_,@function
_ZN9rocsolver6v33100L12sterf_kernelIdEEviPT_lS3_lPiS4_iS2_S2_S2_: ; @_ZN9rocsolver6v33100L12sterf_kernelIdEEviPT_lS3_lPiS4_iS2_S2_S2_
; %bb.0:
	s_load_dwordx8 s[12:19], s[4:5], 0x8
	s_load_dword s33, s[4:5], 0x0
	s_load_dword s60, s[4:5], 0x38
	s_ashr_i32 s7, s6, 31
	s_waitcnt lgkmcnt(0)
	s_mul_hi_u32 s0, s14, s6
	s_mul_i32 s1, s14, s7
	s_add_i32 s0, s0, s1
	s_mul_i32 s1, s15, s6
	s_add_i32 s1, s0, s1
	s_mul_i32 s0, s14, s6
	s_lshl_b64 s[10:11], s[0:1], 3
	s_add_u32 s58, s12, s10
	s_mul_hi_u32 s0, s18, s6
	s_mul_i32 s1, s18, s7
	s_addc_u32 s59, s13, s11
	s_add_i32 s0, s0, s1
	s_mul_i32 s1, s19, s6
	s_add_i32 s1, s0, s1
	s_mul_i32 s0, s18, s6
	s_lshl_b64 s[0:1], s[0:1], 3
	s_add_u32 s14, s16, s0
	s_addc_u32 s15, s17, s1
	s_min_i32 s2, s33, s60
	s_cmp_lt_i32 s2, 1
	s_cbranch_scc1 .LBB9_148
; %bb.1:
	s_load_dwordx4 s[20:23], s[4:5], 0x40
	s_load_dwordx2 s[18:19], s[4:5], 0x50
	s_add_i32 s61, s33, -1
	s_add_u32 s62, s16, s0
	s_addc_u32 s63, s17, s1
	s_waitcnt lgkmcnt(0)
	v_mul_f64 v[0:1], s[20:21], s[20:21]
	s_add_u32 s64, s62, -8
	s_addc_u32 s65, s63, -1
	s_add_u32 s66, s12, s10
	s_addc_u32 s67, s13, s11
	s_add_u32 s68, s66, 8
	s_addc_u32 s69, s67, 0
	s_add_u32 s70, s62, 8
	s_mov_b32 s16, 0
	s_mov_b32 s24, 0x667f3bcd
	s_addc_u32 s71, s63, 0
	s_mov_b32 s72, 0
	v_mov_b32_e32 v2, 0
	s_brev_b32 s17, 8
	v_mov_b32_e32 v24, 0x260
	s_mov_b32 s25, 0x3ff6a09e
	s_mov_b32 s27, 0
	;; [unrolled: 1-line block ×3, first 2 shown]
	s_branch .LBB9_3
.LBB9_2:                                ;   in Loop: Header=BB9_3 Depth=1
	s_andn2_b64 vcc, exec, s[8:9]
	s_cbranch_vccz .LBB9_20
.LBB9_3:                                ; =>This Loop Header: Depth=1
                                        ;     Child Loop BB9_7 Depth 2
                                        ;     Child Loop BB9_14 Depth 2
	;; [unrolled: 1-line block ×6, first 2 shown]
                                        ;       Child Loop BB9_56 Depth 3
                                        ;       Child Loop BB9_68 Depth 3
                                        ;     Child Loop BB9_102 Depth 2
                                        ;       Child Loop BB9_104 Depth 3
                                        ;       Child Loop BB9_117 Depth 3
                                        ;     Child Loop BB9_46 Depth 2
                                        ;     Child Loop BB9_50 Depth 2
	s_mov_b32 s26, s27
	s_cmp_lt_i32 s27, 1
	s_cbranch_scc1 .LBB9_5
; %bb.4:                                ;   in Loop: Header=BB9_3 Depth=1
	s_mov_b32 s27, s72
	s_lshl_b64 s[0:1], s[26:27], 3
	s_add_u32 s0, s14, s0
	s_addc_u32 s1, s15, s1
	v_mov_b32_e32 v3, v2
	global_store_dwordx2 v2, v[2:3], s[0:1] offset:-8
.LBB9_5:                                ;   in Loop: Header=BB9_3 Depth=1
	s_ashr_i32 s27, s26, 31
	s_lshl_b64 s[30:31], s[26:27], 3
	s_add_u32 s0, s64, s30
	s_addc_u32 s1, s65, s31
	s_add_u32 s2, s68, s30
	s_addc_u32 s3, s69, s31
	s_mov_b32 s28, s26
	s_mov_b64 s[8:9], -1
	s_cmp_ge_i32 s28, s61
	s_mov_b64 s[34:35], -1
                                        ; implicit-def: $sgpr27
	s_cbranch_scc1 .LBB9_7
.LBB9_6:                                ;   in Loop: Header=BB9_3 Depth=1
	global_load_dwordx4 v[3:6], v2, s[2:3] offset:-8
	global_load_dwordx2 v[7:8], v2, s[0:1] offset:8
	s_add_u32 s36, s0, 8
	s_addc_u32 s37, s1, 0
	s_waitcnt vmcnt(1)
	v_cmp_lt_f64_e64 s[8:9], |v[3:4]|, s[16:17]
	v_cmp_lt_f64_e64 s[34:35], |v[5:6]|, s[16:17]
	s_and_b64 s[0:1], s[8:9], exec
	s_cselect_b32 s0, 0x100, 0
	s_cselect_b32 s8, 0xffffff80, 0
	s_add_i32 s27, s28, 1
	v_ldexp_f64 v[3:4], |v[3:4]|, s0
	s_and_b64 s[0:1], s[34:35], exec
	s_cselect_b32 s0, 0x100, 0
	v_ldexp_f64 v[5:6], |v[5:6]|, s0
	s_cselect_b32 s0, 0xffffff80, 0
	s_add_u32 s2, s2, 8
	s_addc_u32 s3, s3, 0
	v_rsq_f64_e32 v[9:10], v[3:4]
	v_cmp_class_f64_e32 vcc, v[3:4], v24
	v_rsq_f64_e32 v[11:12], v[5:6]
	v_mul_f64 v[13:14], v[3:4], v[9:10]
	v_mul_f64 v[9:10], v[9:10], 0.5
	v_mul_f64 v[15:16], v[5:6], v[11:12]
	v_mul_f64 v[11:12], v[11:12], 0.5
	v_fma_f64 v[17:18], -v[9:10], v[13:14], 0.5
	v_fma_f64 v[19:20], -v[11:12], v[15:16], 0.5
	v_fma_f64 v[13:14], v[13:14], v[17:18], v[13:14]
	v_fma_f64 v[9:10], v[9:10], v[17:18], v[9:10]
	;; [unrolled: 1-line block ×4, first 2 shown]
	v_fma_f64 v[17:18], -v[13:14], v[13:14], v[3:4]
	v_fma_f64 v[19:20], -v[15:16], v[15:16], v[5:6]
	v_fma_f64 v[13:14], v[17:18], v[9:10], v[13:14]
	v_fma_f64 v[15:16], v[19:20], v[11:12], v[15:16]
	v_fma_f64 v[17:18], -v[13:14], v[13:14], v[3:4]
	v_fma_f64 v[19:20], -v[15:16], v[15:16], v[5:6]
	v_fma_f64 v[9:10], v[17:18], v[9:10], v[13:14]
	v_fma_f64 v[11:12], v[19:20], v[11:12], v[15:16]
	v_ldexp_f64 v[9:10], v[9:10], s8
	s_mov_b64 s[8:9], 0
	v_ldexp_f64 v[11:12], v[11:12], s0
	v_cmp_class_f64_e64 s[0:1], v[5:6], v24
	v_cndmask_b32_e32 v4, v10, v4, vcc
	v_cndmask_b32_e32 v3, v9, v3, vcc
	v_cndmask_b32_e64 v6, v12, v6, s[0:1]
	v_cndmask_b32_e64 v5, v11, v5, s[0:1]
	v_mul_f64 v[3:4], v[3:4], v[5:6]
	s_mov_b64 s[0:1], s[36:37]
	v_mul_f64 v[3:4], s[20:21], v[3:4]
	s_waitcnt vmcnt(0)
	v_cmp_le_f64_e64 s[34:35], |v[7:8]|, v[3:4]
.LBB9_7:                                ;   Parent Loop BB9_3 Depth=1
                                        ; =>  This Inner Loop Header: Depth=2
	s_andn2_b64 vcc, exec, s[34:35]
	s_cbranch_vccz .LBB9_9
; %bb.8:                                ;   in Loop: Header=BB9_7 Depth=2
	s_mov_b32 s28, s27
	s_mov_b64 s[8:9], -1
	s_cmp_ge_i32 s28, s61
	s_mov_b64 s[34:35], -1
                                        ; implicit-def: $sgpr27
	s_cbranch_scc0 .LBB9_6
	s_branch .LBB9_7
.LBB9_9:                                ;   in Loop: Header=BB9_3 Depth=1
	s_andn2_b64 vcc, exec, s[8:9]
	s_mov_b64 s[2:3], -1
	s_cbranch_vccnz .LBB9_16
; %bb.10:                               ;   in Loop: Header=BB9_3 Depth=1
	s_andn2_b64 vcc, exec, s[2:3]
	s_cbranch_vccz .LBB9_17
.LBB9_11:                               ;   in Loop: Header=BB9_3 Depth=1
	s_cmp_lg_u32 s28, s26
	s_mov_b64 s[2:3], -1
	s_cbranch_scc0 .LBB9_18
.LBB9_12:                               ;   in Loop: Header=BB9_3 Depth=1
	s_ashr_i32 s29, s28, 31
	s_lshl_b64 s[0:1], s[28:29], 3
	s_add_u32 s34, s58, s0
	s_addc_u32 s35, s59, s1
	global_load_dwordx2 v[6:7], v2, s[34:35]
	s_cmp_lt_i32 s26, s28
	s_cselect_b64 s[0:1], -1, 0
	s_cmp_ge_i32 s26, s28
	s_waitcnt vmcnt(0)
	v_and_b32_e32 v5, 0x7fffffff, v7
	v_mov_b32_e32 v4, v6
	s_cbranch_scc1 .LBB9_15
; %bb.13:                               ;   in Loop: Header=BB9_3 Depth=1
	s_add_u32 s8, s66, s30
	s_addc_u32 s9, s67, s31
	s_add_u32 s36, s62, s30
	s_addc_u32 s37, s63, s31
	s_mov_b32 s29, s26
.LBB9_14:                               ;   Parent Loop BB9_3 Depth=1
                                        ; =>  This Inner Loop Header: Depth=2
	global_load_dwordx2 v[8:9], v2, s[36:37]
	global_load_dwordx2 v[10:11], v2, s[8:9]
	v_max_f64 v[3:4], v[4:5], v[4:5]
	s_add_i32 s29, s29, 1
	s_add_u32 s8, s8, 8
	s_addc_u32 s9, s9, 0
	s_add_u32 s36, s36, 8
	s_addc_u32 s37, s37, 0
	s_cmp_lt_i32 s29, s28
	s_waitcnt vmcnt(1)
	v_max_f64 v[8:9], |v[8:9]|, |v[8:9]|
	s_waitcnt vmcnt(0)
	v_max_f64 v[10:11], |v[10:11]|, |v[10:11]|
	v_max_f64 v[8:9], v[10:11], v[8:9]
	v_max_f64 v[4:5], v[3:4], v[8:9]
	s_cbranch_scc1 .LBB9_14
.LBB9_15:                               ;   in Loop: Header=BB9_3 Depth=1
	v_cmp_eq_f64_e64 s[8:9], 0, v[4:5]
	s_and_b64 vcc, exec, s[8:9]
	s_mov_b64 s[8:9], -1
	s_cbranch_vccz .LBB9_2
	s_branch .LBB9_19
.LBB9_16:                               ;   in Loop: Header=BB9_3 Depth=1
	v_mov_b32_e32 v3, v2
	global_store_dwordx2 v2, v[2:3], s[0:1]
	s_cbranch_execnz .LBB9_11
.LBB9_17:                               ;   in Loop: Header=BB9_3 Depth=1
	s_max_i32 s28, s26, s61
	s_add_i32 s27, s28, 1
	s_cmp_lg_u32 s28, s26
	s_mov_b64 s[2:3], -1
	s_cbranch_scc1 .LBB9_12
.LBB9_18:                               ;   in Loop: Header=BB9_3 Depth=1
                                        ; implicit-def: $sgpr34_sgpr35
                                        ; implicit-def: $vgpr6_vgpr7
                                        ; implicit-def: $sgpr0_sgpr1
                                        ; implicit-def: $vgpr4_vgpr5
	s_mov_b64 s[8:9], -1
	s_cbranch_execz .LBB9_2
.LBB9_19:                               ;   in Loop: Header=BB9_3 Depth=1
	s_cmp_ge_i32 s27, s33
	s_mov_b64 s[2:3], 0
	s_cselect_b64 s[8:9], -1, 0
	s_branch .LBB9_2
.LBB9_20:                               ;   in Loop: Header=BB9_3 Depth=1
	s_mov_b64 s[8:9], -1
	s_and_b64 vcc, exec, s[2:3]
                                        ; implicit-def: $sgpr37
	s_cbranch_vccz .LBB9_52
; %bb.21:                               ;   in Loop: Header=BB9_3 Depth=1
	v_cmp_nlt_f64_e32 vcc, s[18:19], v[4:5]
	s_cbranch_vccz .LBB9_27
; %bb.22:                               ;   in Loop: Header=BB9_3 Depth=1
	v_cmp_gt_f64_e32 vcc, s[22:23], v[4:5]
	s_mov_b64 s[2:3], -1
	s_cbranch_vccz .LBB9_28
; %bb.23:                               ;   in Loop: Header=BB9_3 Depth=1
	v_div_scale_f64 v[8:9], s[2:3], s[22:23], s[22:23], v[4:5]
	s_mov_b64 s[2:3], 0
	v_rcp_f64_e32 v[10:11], v[8:9]
	v_fma_f64 v[12:13], -v[8:9], v[10:11], 1.0
	v_fma_f64 v[10:11], v[10:11], v[12:13], v[10:11]
	v_div_scale_f64 v[12:13], vcc, v[4:5], s[22:23], v[4:5]
	v_fma_f64 v[14:15], -v[8:9], v[10:11], 1.0
	v_fma_f64 v[10:11], v[10:11], v[14:15], v[10:11]
	v_mul_f64 v[14:15], v[12:13], v[10:11]
	v_fma_f64 v[8:9], -v[8:9], v[14:15], v[12:13]
	v_div_fmas_f64 v[8:9], v[8:9], v[10:11], v[14:15]
	s_and_b64 vcc, exec, s[0:1]
	v_div_fixup_f64 v[8:9], v[8:9], s[22:23], v[4:5]
	s_waitcnt vmcnt(0)
	v_mul_f64 v[10:11], v[6:7], v[8:9]
	global_store_dwordx2 v2, v[10:11], s[34:35]
	s_cbranch_vccz .LBB9_28
; %bb.24:                               ;   in Loop: Header=BB9_3 Depth=1
	s_add_u32 s2, s66, s30
	s_addc_u32 s3, s67, s31
	s_add_u32 s8, s62, s30
	s_addc_u32 s9, s63, s31
	s_mov_b32 s29, s26
.LBB9_25:                               ;   Parent Loop BB9_3 Depth=1
                                        ; =>  This Inner Loop Header: Depth=2
	global_load_dwordx2 v[10:11], v2, s[2:3]
	s_add_i32 s29, s29, 1
	s_waitcnt vmcnt(0)
	v_mul_f64 v[10:11], v[8:9], v[10:11]
	global_store_dwordx2 v2, v[10:11], s[2:3]
	global_load_dwordx2 v[10:11], v2, s[8:9]
	s_add_u32 s2, s2, 8
	s_addc_u32 s3, s3, 0
	s_waitcnt vmcnt(0)
	v_mul_f64 v[10:11], v[8:9], v[10:11]
	global_store_dwordx2 v2, v[10:11], s[8:9]
	s_add_u32 s8, s8, 8
	s_addc_u32 s9, s9, 0
	s_cmp_lt_i32 s29, s28
	s_cbranch_scc1 .LBB9_25
; %bb.26:                               ;   in Loop: Header=BB9_3 Depth=1
	s_mov_b64 s[2:3], -1
	s_branch .LBB9_33
.LBB9_27:                               ;   in Loop: Header=BB9_3 Depth=1
	s_mov_b64 s[2:3], 0
	s_and_b64 vcc, exec, s[8:9]
	s_cbranch_vccnz .LBB9_29
	s_branch .LBB9_33
.LBB9_28:                               ;   in Loop: Header=BB9_3 Depth=1
	s_branch .LBB9_33
.LBB9_29:                               ;   in Loop: Header=BB9_3 Depth=1
	v_div_scale_f64 v[8:9], s[8:9], s[18:19], s[18:19], v[4:5]
	v_rcp_f64_e32 v[10:11], v[8:9]
	v_fma_f64 v[12:13], -v[8:9], v[10:11], 1.0
	v_fma_f64 v[10:11], v[10:11], v[12:13], v[10:11]
	v_div_scale_f64 v[12:13], vcc, v[4:5], s[18:19], v[4:5]
	v_fma_f64 v[14:15], -v[8:9], v[10:11], 1.0
	v_fma_f64 v[10:11], v[10:11], v[14:15], v[10:11]
	v_mul_f64 v[14:15], v[12:13], v[10:11]
	v_fma_f64 v[8:9], -v[8:9], v[14:15], v[12:13]
	v_div_fmas_f64 v[8:9], v[8:9], v[10:11], v[14:15]
	s_and_b64 vcc, exec, s[0:1]
	v_div_fixup_f64 v[8:9], v[8:9], s[18:19], v[4:5]
	s_waitcnt vmcnt(0)
	v_mul_f64 v[6:7], v[6:7], v[8:9]
	global_store_dwordx2 v2, v[6:7], s[34:35]
	s_cbranch_vccz .LBB9_33
; %bb.30:                               ;   in Loop: Header=BB9_3 Depth=1
	s_add_u32 s2, s66, s30
	s_addc_u32 s3, s67, s31
	s_add_u32 s8, s62, s30
	s_addc_u32 s9, s63, s31
	s_mov_b32 s29, s26
.LBB9_31:                               ;   Parent Loop BB9_3 Depth=1
                                        ; =>  This Inner Loop Header: Depth=2
	global_load_dwordx2 v[6:7], v2, s[2:3]
	s_add_i32 s29, s29, 1
	s_waitcnt vmcnt(0)
	v_mul_f64 v[6:7], v[8:9], v[6:7]
	global_store_dwordx2 v2, v[6:7], s[2:3]
	global_load_dwordx2 v[6:7], v2, s[8:9]
	s_add_u32 s2, s2, 8
	s_addc_u32 s3, s3, 0
	s_waitcnt vmcnt(0)
	v_mul_f64 v[6:7], v[8:9], v[6:7]
	global_store_dwordx2 v2, v[6:7], s[8:9]
	s_add_u32 s8, s8, 8
	s_addc_u32 s9, s9, 0
	s_cmp_ge_i32 s29, s28
	s_cbranch_scc0 .LBB9_31
; %bb.32:                               ;   in Loop: Header=BB9_3 Depth=1
	s_mov_b64 s[2:3], -1
.LBB9_33:                               ;   in Loop: Header=BB9_3 Depth=1
	v_cndmask_b32_e64 v3, 0, 1, s[0:1]
	s_and_b64 vcc, exec, s[2:3]
	v_cmp_ne_u32_e64 s[0:1], 1, v3
	s_cbranch_vccz .LBB9_37
; %bb.34:                               ;   in Loop: Header=BB9_3 Depth=1
	s_and_b64 vcc, exec, s[0:1]
	s_cbranch_vccnz .LBB9_37
; %bb.35:                               ;   in Loop: Header=BB9_3 Depth=1
	s_add_u32 s2, s62, s30
	s_addc_u32 s3, s63, s31
	s_mov_b32 s8, s26
.LBB9_36:                               ;   Parent Loop BB9_3 Depth=1
                                        ; =>  This Inner Loop Header: Depth=2
	global_load_dwordx2 v[6:7], v2, s[2:3]
	s_add_i32 s8, s8, 1
	s_waitcnt vmcnt(0)
	v_mul_f64 v[6:7], v[6:7], v[6:7]
	global_store_dwordx2 v2, v[6:7], s[2:3]
	s_add_u32 s2, s2, 8
	s_addc_u32 s3, s3, 0
	s_cmp_lt_i32 s8, s28
	s_cbranch_scc1 .LBB9_36
.LBB9_37:                               ;   in Loop: Header=BB9_3 Depth=1
	s_add_u32 s2, s58, s30
	s_addc_u32 s3, s59, s31
	global_load_dwordx2 v[6:7], v2, s[34:35]
	global_load_dwordx2 v[8:9], v2, s[2:3]
	s_mov_b64 s[8:9], -1
                                        ; implicit-def: $sgpr37
	s_waitcnt vmcnt(0)
	v_cmp_lt_f64_e64 s[2:3], |v[6:7]|, |v[8:9]|
	s_and_b64 s[2:3], s[2:3], exec
	s_cselect_b32 s29, s26, s28
	s_cselect_b32 s36, s28, s26
	s_cmp_lt_i32 s73, s60
	s_cselect_b64 s[2:3], -1, 0
	v_cndmask_b32_e64 v3, 0, 1, s[2:3]
	s_cmp_lt_i32 s29, s36
	v_cmp_ne_u32_e64 s[2:3], 1, v3
	s_cbranch_scc0 .LBB9_40
; %bb.38:                               ;   in Loop: Header=BB9_3 Depth=1
	s_andn2_b64 vcc, exec, s[8:9]
	s_cbranch_vccz .LBB9_42
.LBB9_39:                               ;   in Loop: Header=BB9_3 Depth=1
	v_cmp_lt_f64_e32 vcc, s[18:19], v[4:5]
	s_andn2_b64 vcc, exec, vcc
	s_cbranch_vccz .LBB9_44
	s_branch .LBB9_47
.LBB9_40:                               ;   in Loop: Header=BB9_3 Depth=1
	s_and_b64 vcc, exec, s[2:3]
	s_mov_b32 s37, s73
	s_mov_b32 s38, s36
	s_cbranch_vccz .LBB9_54
.LBB9_41:                               ;   in Loop: Header=BB9_3 Depth=1
	s_cbranch_execnz .LBB9_39
.LBB9_42:                               ;   in Loop: Header=BB9_3 Depth=1
	s_and_b64 vcc, exec, s[2:3]
	s_cbranch_vccz .LBB9_102
.LBB9_43:                               ;   in Loop: Header=BB9_3 Depth=1
	s_mov_b32 s37, s73
	v_cmp_lt_f64_e32 vcc, s[18:19], v[4:5]
	s_andn2_b64 vcc, exec, vcc
	s_cbranch_vccnz .LBB9_47
.LBB9_44:                               ;   in Loop: Header=BB9_3 Depth=1
	s_waitcnt vmcnt(0)
	v_div_scale_f64 v[6:7], s[2:3], v[4:5], v[4:5], s[18:19]
	global_load_dwordx2 v[10:11], v2, s[34:35]
	v_div_scale_f64 v[14:15], vcc, s[18:19], v[4:5], s[18:19]
	v_rcp_f64_e32 v[8:9], v[6:7]
	v_fma_f64 v[12:13], -v[6:7], v[8:9], 1.0
	v_fma_f64 v[8:9], v[8:9], v[12:13], v[8:9]
	v_fma_f64 v[12:13], -v[6:7], v[8:9], 1.0
	v_fma_f64 v[8:9], v[8:9], v[12:13], v[8:9]
	v_mul_f64 v[12:13], v[14:15], v[8:9]
	v_fma_f64 v[6:7], -v[6:7], v[12:13], v[14:15]
	v_div_fmas_f64 v[6:7], v[6:7], v[8:9], v[12:13]
	s_and_b64 vcc, exec, s[0:1]
	v_div_fixup_f64 v[6:7], v[6:7], v[4:5], s[18:19]
	s_waitcnt vmcnt(0)
	v_mul_f64 v[8:9], v[6:7], v[10:11]
	global_store_dwordx2 v2, v[8:9], s[34:35]
	s_cbranch_vccnz .LBB9_47
; %bb.45:                               ;   in Loop: Header=BB9_3 Depth=1
	s_add_u32 s2, s66, s30
	s_addc_u32 s3, s67, s31
	s_add_u32 s8, s62, s30
	s_addc_u32 s9, s63, s31
	s_mov_b32 s29, s26
.LBB9_46:                               ;   Parent Loop BB9_3 Depth=1
                                        ; =>  This Inner Loop Header: Depth=2
	global_load_dwordx2 v[8:9], v2, s[2:3]
	s_add_i32 s29, s29, 1
	s_waitcnt vmcnt(0)
	v_mul_f64 v[8:9], v[6:7], v[8:9]
	global_store_dwordx2 v2, v[8:9], s[2:3]
	global_load_dwordx2 v[8:9], v2, s[8:9]
	s_add_u32 s2, s2, 8
	s_addc_u32 s3, s3, 0
	s_waitcnt vmcnt(0)
	v_mul_f64 v[8:9], v[6:7], v[8:9]
	global_store_dwordx2 v2, v[8:9], s[8:9]
	s_add_u32 s8, s8, 8
	s_addc_u32 s9, s9, 0
	s_cmp_lt_i32 s29, s28
	s_cbranch_scc1 .LBB9_46
.LBB9_47:                               ;   in Loop: Header=BB9_3 Depth=1
	v_cmp_ngt_f64_e32 vcc, s[22:23], v[4:5]
	s_cbranch_vccnz .LBB9_51
; %bb.48:                               ;   in Loop: Header=BB9_3 Depth=1
	s_waitcnt vmcnt(0)
	v_div_scale_f64 v[6:7], s[2:3], v[4:5], v[4:5], s[22:23]
	global_load_dwordx2 v[10:11], v2, s[34:35]
	v_div_scale_f64 v[14:15], vcc, s[22:23], v[4:5], s[22:23]
	v_rcp_f64_e32 v[8:9], v[6:7]
	v_fma_f64 v[12:13], -v[6:7], v[8:9], 1.0
	v_fma_f64 v[8:9], v[8:9], v[12:13], v[8:9]
	v_fma_f64 v[12:13], -v[6:7], v[8:9], 1.0
	v_fma_f64 v[8:9], v[8:9], v[12:13], v[8:9]
	v_mul_f64 v[12:13], v[14:15], v[8:9]
	v_fma_f64 v[6:7], -v[6:7], v[12:13], v[14:15]
	v_div_fmas_f64 v[6:7], v[6:7], v[8:9], v[12:13]
	s_and_b64 vcc, exec, s[0:1]
	v_div_fixup_f64 v[3:4], v[6:7], v[4:5], s[22:23]
	s_waitcnt vmcnt(0)
	v_mul_f64 v[5:6], v[3:4], v[10:11]
	global_store_dwordx2 v2, v[5:6], s[34:35]
	s_cbranch_vccnz .LBB9_51
; %bb.49:                               ;   in Loop: Header=BB9_3 Depth=1
	s_add_u32 s0, s66, s30
	s_addc_u32 s1, s67, s31
	s_add_u32 s2, s62, s30
	s_addc_u32 s3, s63, s31
.LBB9_50:                               ;   Parent Loop BB9_3 Depth=1
                                        ; =>  This Inner Loop Header: Depth=2
	global_load_dwordx2 v[5:6], v2, s[0:1]
	s_add_i32 s26, s26, 1
	s_waitcnt vmcnt(0)
	v_mul_f64 v[5:6], v[3:4], v[5:6]
	global_store_dwordx2 v2, v[5:6], s[0:1]
	global_load_dwordx2 v[5:6], v2, s[2:3]
	s_add_u32 s0, s0, 8
	s_addc_u32 s1, s1, 0
	s_waitcnt vmcnt(0)
	v_mul_f64 v[5:6], v[3:4], v[5:6]
	global_store_dwordx2 v2, v[5:6], s[2:3]
	s_add_u32 s2, s2, 8
	s_addc_u32 s3, s3, 0
	s_cmp_lt_i32 s26, s28
	s_cbranch_scc1 .LBB9_50
.LBB9_51:                               ;   in Loop: Header=BB9_3 Depth=1
	s_cmp_ge_i32 s37, s60
	s_cselect_b64 s[0:1], -1, 0
	s_cmp_ge_i32 s27, s33
	s_cselect_b64 s[2:3], -1, 0
	s_or_b64 s[8:9], s[2:3], s[0:1]
.LBB9_52:                               ;   in Loop: Header=BB9_3 Depth=1
	s_and_b64 vcc, exec, s[8:9]
	s_mov_b32 s73, s37
	s_cbranch_vccz .LBB9_3
	s_branch .LBB9_148
.LBB9_53:                               ;   in Loop: Header=BB9_54 Depth=2
	s_andn2_b64 vcc, exec, s[40:41]
	s_cbranch_vccz .LBB9_41
.LBB9_54:                               ;   Parent Loop BB9_3 Depth=1
                                        ; =>  This Loop Header: Depth=2
                                        ;       Child Loop BB9_56 Depth 3
                                        ;       Child Loop BB9_68 Depth 3
	s_ashr_i32 s39, s38, 31
	s_max_i32 s8, s29, s38
	s_lshl_b64 s[44:45], s[38:39], 3
	s_add_u32 s40, s64, s44
	s_addc_u32 s41, s65, s45
	s_add_u32 s42, s68, s44
	s_addc_u32 s43, s69, s45
	s_mov_b32 s9, s38
	s_mov_b64 s[46:47], -1
	s_cmp_ge_i32 s9, s29
	s_mov_b64 s[48:49], -1
                                        ; implicit-def: $sgpr39
	s_cbranch_scc1 .LBB9_56
.LBB9_55:                               ;   in Loop: Header=BB9_54 Depth=2
	global_load_dwordx4 v[6:9], v2, s[42:43] offset:-8
	global_load_dwordx2 v[10:11], v2, s[40:41] offset:8
	s_add_u32 s40, s40, 8
	s_addc_u32 s41, s41, 0
	s_add_i32 s39, s9, 1
	s_add_u32 s42, s42, 8
	s_addc_u32 s43, s43, 0
	s_mov_b64 s[46:47], 0
	s_waitcnt vmcnt(1)
	v_mul_f64 v[6:7], v[6:7], v[8:9]
	v_mul_f64 v[6:7], v[0:1], |v[6:7]|
	s_waitcnt vmcnt(0)
	v_cmp_le_f64_e64 s[48:49], |v[10:11]|, v[6:7]
.LBB9_56:                               ;   Parent Loop BB9_3 Depth=1
                                        ;     Parent Loop BB9_54 Depth=2
                                        ; =>    This Inner Loop Header: Depth=3
	s_andn2_b64 vcc, exec, s[48:49]
	s_cbranch_vccz .LBB9_58
; %bb.57:                               ;   in Loop: Header=BB9_56 Depth=3
	s_mov_b32 s9, s39
	s_mov_b64 s[46:47], -1
	s_cmp_ge_i32 s9, s29
	s_mov_b64 s[48:49], -1
                                        ; implicit-def: $sgpr39
	s_cbranch_scc0 .LBB9_55
	s_branch .LBB9_56
.LBB9_58:                               ;   in Loop: Header=BB9_54 Depth=2
	s_andn2_b64 vcc, exec, s[46:47]
	s_cbranch_vccz .LBB9_60
; %bb.59:                               ;   in Loop: Header=BB9_54 Depth=2
	v_mov_b32_e32 v3, v2
	s_mov_b32 s8, s9
	global_store_dwordx2 v2, v[2:3], s[40:41]
.LBB9_60:                               ;   in Loop: Header=BB9_54 Depth=2
	s_add_i32 s9, s38, 1
	s_cmp_eq_u32 s8, s38
	s_mov_b64 s[40:41], -1
	s_cbranch_scc1 .LBB9_76
; %bb.61:                               ;   in Loop: Header=BB9_54 Depth=2
	s_add_u32 s42, s58, s44
	s_addc_u32 s43, s59, s45
	global_load_dwordx2 v[6:7], v2, s[42:43]
	s_cmp_lg_u32 s8, s9
	s_cbranch_scc0 .LBB9_77
; %bb.62:                               ;   in Loop: Header=BB9_54 Depth=2
	s_mov_b64 s[46:47], 0
	s_cmp_lg_u32 s37, s60
	s_mov_b32 s9, s60
	s_mov_b64 s[48:49], 0
	s_cbranch_scc0 .LBB9_78
; %bb.63:                               ;   in Loop: Header=BB9_54 Depth=2
	s_add_u32 s48, s14, s44
	s_addc_u32 s49, s15, s45
	global_load_dwordx2 v[8:9], v2, s[48:49]
	global_load_dwordx2 v[10:11], v2, s[42:43] offset:8
	s_waitcnt vmcnt(1)
	v_cmp_gt_f64_e32 vcc, s[16:17], v[8:9]
	s_waitcnt vmcnt(0)
	v_add_f64 v[10:11], v[10:11], -v[6:7]
	s_and_b64 s[50:51], vcc, exec
	s_cselect_b32 s9, 0x100, 0
	v_ldexp_f64 v[8:9], v[8:9], s9
	s_cselect_b32 s9, 0xffffff80, 0
	v_rsq_f64_e32 v[12:13], v[8:9]
	v_cmp_class_f64_e32 vcc, v[8:9], v24
	v_mul_f64 v[14:15], v[8:9], v[12:13]
	v_mul_f64 v[12:13], v[12:13], 0.5
	v_fma_f64 v[16:17], -v[12:13], v[14:15], 0.5
	v_fma_f64 v[14:15], v[14:15], v[16:17], v[14:15]
	v_fma_f64 v[12:13], v[12:13], v[16:17], v[12:13]
	v_fma_f64 v[16:17], -v[14:15], v[14:15], v[8:9]
	v_fma_f64 v[14:15], v[16:17], v[12:13], v[14:15]
	v_fma_f64 v[16:17], -v[14:15], v[14:15], v[8:9]
	v_fma_f64 v[12:13], v[16:17], v[12:13], v[14:15]
	v_ldexp_f64 v[12:13], v[12:13], s9
	v_cndmask_b32_e32 v9, v13, v9, vcc
	v_cndmask_b32_e32 v8, v12, v8, vcc
	v_add_f64 v[12:13], v[8:9], v[8:9]
	v_div_scale_f64 v[14:15], s[50:51], v[12:13], v[12:13], v[10:11]
	v_rcp_f64_e32 v[16:17], v[14:15]
	v_fma_f64 v[18:19], -v[14:15], v[16:17], 1.0
	v_fma_f64 v[16:17], v[16:17], v[18:19], v[16:17]
	v_div_scale_f64 v[18:19], vcc, v[10:11], v[12:13], v[10:11]
	v_fma_f64 v[20:21], -v[14:15], v[16:17], 1.0
	v_fma_f64 v[16:17], v[16:17], v[20:21], v[16:17]
	v_mul_f64 v[20:21], v[18:19], v[16:17]
	v_fma_f64 v[14:15], -v[14:15], v[20:21], v[18:19]
	v_div_fmas_f64 v[14:15], v[14:15], v[16:17], v[20:21]
	v_div_fixup_f64 v[10:11], v[14:15], v[12:13], v[10:11]
	v_fma_f64 v[12:13], v[10:11], v[10:11], 1.0
	v_cmp_gt_f64_e32 vcc, s[16:17], v[12:13]
	s_and_b64 s[50:51], vcc, exec
	s_cselect_b32 s9, 0x100, 0
	v_ldexp_f64 v[12:13], v[12:13], s9
	s_cselect_b32 s9, 0xffffff80, 0
	v_rsq_f64_e32 v[14:15], v[12:13]
	v_cmp_class_f64_e32 vcc, v[12:13], v24
	v_mul_f64 v[16:17], v[12:13], v[14:15]
	v_mul_f64 v[14:15], v[14:15], 0.5
	v_fma_f64 v[18:19], -v[14:15], v[16:17], 0.5
	v_fma_f64 v[16:17], v[16:17], v[18:19], v[16:17]
	v_fma_f64 v[14:15], v[14:15], v[18:19], v[14:15]
	v_fma_f64 v[18:19], -v[16:17], v[16:17], v[12:13]
	v_fma_f64 v[16:17], v[18:19], v[14:15], v[16:17]
	v_fma_f64 v[18:19], -v[16:17], v[16:17], v[12:13]
	v_fma_f64 v[14:15], v[18:19], v[14:15], v[16:17]
	v_ldexp_f64 v[14:15], v[14:15], s9
	s_ashr_i32 s9, s8, 31
	s_lshl_b64 s[52:53], s[8:9], 3
	v_cndmask_b32_e32 v3, v15, v13, vcc
	v_cndmask_b32_e32 v12, v14, v12, vcc
	v_cmp_nle_f64_e32 vcc, 0, v[10:11]
	v_and_b32_e32 v13, 0x7fffffff, v3
	v_or_b32_e32 v3, 0x80000000, v3
	v_cndmask_b32_e32 v13, v13, v3, vcc
	v_add_f64 v[10:11], v[10:11], v[12:13]
	v_div_scale_f64 v[12:13], s[50:51], v[10:11], v[10:11], v[8:9]
	s_add_u32 s50, s58, s52
	s_addc_u32 s51, s59, s53
	s_nop 2
	global_load_dwordx2 v[18:19], v2, s[50:51]
	v_div_scale_f64 v[20:21], vcc, v[8:9], v[10:11], v[8:9]
	s_cmp_le_i32 s8, s38
	v_rcp_f64_e32 v[14:15], v[12:13]
	v_fma_f64 v[16:17], -v[12:13], v[14:15], 1.0
	v_fma_f64 v[14:15], v[14:15], v[16:17], v[14:15]
	v_fma_f64 v[16:17], -v[12:13], v[14:15], 1.0
	v_fma_f64 v[14:15], v[14:15], v[16:17], v[14:15]
	v_mul_f64 v[16:17], v[20:21], v[14:15]
	v_fma_f64 v[12:13], -v[12:13], v[16:17], v[20:21]
	v_div_fmas_f64 v[12:13], v[12:13], v[14:15], v[16:17]
	v_div_fixup_f64 v[8:9], v[12:13], v[10:11], v[8:9]
	v_mov_b32_e32 v12, 0
	v_mov_b32_e32 v13, 0
	v_add_f64 v[8:9], v[6:7], -v[8:9]
	s_waitcnt vmcnt(0)
	v_add_f64 v[18:19], v[18:19], -v[8:9]
	v_mul_f64 v[10:11], v[18:19], v[18:19]
	s_cbranch_scc1 .LBB9_98
; %bb.64:                               ;   in Loop: Header=BB9_54 Depth=2
	s_add_u32 s52, s14, s52
	s_addc_u32 s53, s15, s53
	global_load_dwordx2 v[14:15], v2, s[52:53] offset:-8
	global_load_dwordx2 v[20:21], v2, s[50:51] offset:-8
	s_waitcnt vmcnt(1)
	v_add_f64 v[12:13], v[10:11], v[14:15]
	v_div_scale_f64 v[16:17], s[52:53], v[12:13], v[12:13], v[10:11]
	v_rcp_f64_e32 v[22:23], v[16:17]
	v_fma_f64 v[25:26], -v[16:17], v[22:23], 1.0
	v_fma_f64 v[22:23], v[22:23], v[25:26], v[22:23]
	v_fma_f64 v[25:26], -v[16:17], v[22:23], 1.0
	v_fma_f64 v[22:23], v[22:23], v[25:26], v[22:23]
	v_div_scale_f64 v[25:26], vcc, v[10:11], v[12:13], v[10:11]
	v_mul_f64 v[27:28], v[25:26], v[22:23]
	v_fma_f64 v[16:17], -v[16:17], v[27:28], v[25:26]
	s_nop 1
	v_div_fmas_f64 v[16:17], v[16:17], v[22:23], v[27:28]
	v_div_fixup_f64 v[10:11], v[16:17], v[12:13], v[10:11]
	v_div_scale_f64 v[16:17], s[52:53], v[12:13], v[12:13], v[14:15]
	v_rcp_f64_e32 v[22:23], v[16:17]
	v_fma_f64 v[25:26], -v[16:17], v[22:23], 1.0
	v_fma_f64 v[22:23], v[22:23], v[25:26], v[22:23]
	v_fma_f64 v[25:26], -v[16:17], v[22:23], 1.0
	v_fma_f64 v[22:23], v[22:23], v[25:26], v[22:23]
	v_div_scale_f64 v[25:26], vcc, v[14:15], v[12:13], v[14:15]
	v_mul_f64 v[27:28], v[25:26], v[22:23]
	v_fma_f64 v[16:17], -v[16:17], v[27:28], v[25:26]
	s_nop 1
	v_div_fmas_f64 v[16:17], v[16:17], v[22:23], v[27:28]
	v_cmp_eq_f64_e32 vcc, 0, v[10:11]
	s_and_b64 vcc, exec, vcc
	v_div_fixup_f64 v[12:13], v[16:17], v[12:13], v[14:15]
	s_waitcnt vmcnt(0)
	v_add_f64 v[16:17], v[20:21], -v[8:9]
	v_mul_f64 v[22:23], v[18:19], v[12:13]
	v_fma_f64 v[16:17], v[10:11], v[16:17], -v[22:23]
	v_add_f64 v[20:21], v[20:21], -v[16:17]
	v_add_f64 v[18:19], v[18:19], v[20:21]
	global_store_dwordx2 v2, v[18:19], s[50:51]
	s_cbranch_vccnz .LBB9_66
; %bb.65:                               ;   in Loop: Header=BB9_54 Depth=2
	v_mul_f64 v[14:15], v[16:17], v[16:17]
	v_div_scale_f64 v[18:19], s[50:51], v[10:11], v[10:11], v[14:15]
	v_div_scale_f64 v[25:26], vcc, v[14:15], v[10:11], v[14:15]
	v_rcp_f64_e32 v[20:21], v[18:19]
	v_fma_f64 v[22:23], -v[18:19], v[20:21], 1.0
	v_fma_f64 v[20:21], v[20:21], v[22:23], v[20:21]
	v_fma_f64 v[22:23], -v[18:19], v[20:21], 1.0
	v_fma_f64 v[20:21], v[20:21], v[22:23], v[20:21]
	v_mul_f64 v[22:23], v[25:26], v[20:21]
	v_fma_f64 v[18:19], -v[18:19], v[22:23], v[25:26]
	v_div_fmas_f64 v[18:19], v[18:19], v[20:21], v[22:23]
	v_div_fixup_f64 v[14:15], v[18:19], v[10:11], v[14:15]
.LBB9_66:                               ;   in Loop: Header=BB9_54 Depth=2
	s_add_i32 s9, s8, -1
	s_cmp_le_i32 s9, s38
	s_cbranch_scc1 .LBB9_96
; %bb.67:                               ;   in Loop: Header=BB9_54 Depth=2
	s_add_i32 s50, s8, -2
	s_ashr_i32 s51, s50, 31
	s_lshl_b64 s[50:51], s[50:51], 3
	s_add_u32 s52, s68, s50
	s_addc_u32 s53, s69, s51
	s_add_u32 s56, s70, s50
	s_addc_u32 s57, s71, s51
	s_mov_b32 s9, -1
.LBB9_68:                               ;   Parent Loop BB9_3 Depth=1
                                        ;     Parent Loop BB9_54 Depth=2
                                        ; =>    This Inner Loop Header: Depth=3
	global_load_dwordx2 v[22:23], v2, s[56:57] offset:-8
	s_add_u32 s50, s56, -8
	s_addc_u32 s51, s57, -1
	s_cmp_eq_u32 s9, 0
	s_waitcnt vmcnt(0)
	v_add_f64 v[18:19], v[14:15], v[22:23]
	s_cbranch_scc1 .LBB9_70
; %bb.69:                               ;   in Loop: Header=BB9_68 Depth=3
	v_mul_f64 v[12:13], v[12:13], v[18:19]
	global_store_dwordx2 v2, v[12:13], s[56:57]
.LBB9_70:                               ;   in Loop: Header=BB9_68 Depth=3
	v_div_scale_f64 v[12:13], s[54:55], v[18:19], v[18:19], v[14:15]
	v_rcp_f64_e32 v[20:21], v[12:13]
	v_fma_f64 v[25:26], -v[12:13], v[20:21], 1.0
	v_fma_f64 v[20:21], v[20:21], v[25:26], v[20:21]
	v_fma_f64 v[25:26], -v[12:13], v[20:21], 1.0
	v_fma_f64 v[20:21], v[20:21], v[25:26], v[20:21]
	v_div_scale_f64 v[25:26], vcc, v[14:15], v[18:19], v[14:15]
	v_mul_f64 v[27:28], v[25:26], v[20:21]
	v_fma_f64 v[12:13], -v[12:13], v[27:28], v[25:26]
	s_nop 1
	v_div_fmas_f64 v[12:13], v[12:13], v[20:21], v[27:28]
	v_div_fixup_f64 v[20:21], v[12:13], v[18:19], v[14:15]
	v_div_scale_f64 v[12:13], s[54:55], v[18:19], v[18:19], v[22:23]
	s_add_u32 s54, s52, -8
	s_addc_u32 s55, s53, -1
	v_rcp_f64_e32 v[14:15], v[12:13]
	v_fma_f64 v[25:26], -v[12:13], v[14:15], 1.0
	v_fma_f64 v[14:15], v[14:15], v[25:26], v[14:15]
	v_fma_f64 v[25:26], -v[12:13], v[14:15], 1.0
	v_fma_f64 v[14:15], v[14:15], v[25:26], v[14:15]
	v_div_scale_f64 v[25:26], vcc, v[22:23], v[18:19], v[22:23]
	v_mul_f64 v[27:28], v[25:26], v[14:15]
	v_fma_f64 v[12:13], -v[12:13], v[27:28], v[25:26]
	s_nop 1
	v_div_fmas_f64 v[12:13], v[12:13], v[14:15], v[27:28]
	global_load_dwordx2 v[14:15], v2, s[52:53] offset:-8
	v_cmp_eq_f64_e32 vcc, 0, v[20:21]
	s_and_b64 vcc, exec, vcc
	v_div_fixup_f64 v[12:13], v[12:13], v[18:19], v[22:23]
	v_mul_f64 v[25:26], v[16:17], v[12:13]
	s_waitcnt vmcnt(0)
	v_add_f64 v[18:19], v[14:15], -v[8:9]
	v_fma_f64 v[18:19], v[20:21], v[18:19], -v[25:26]
	v_add_f64 v[14:15], v[14:15], -v[18:19]
	v_add_f64 v[14:15], v[16:17], v[14:15]
	global_store_dwordx2 v2, v[14:15], s[52:53]
	s_cbranch_vccz .LBB9_75
; %bb.71:                               ;   in Loop: Header=BB9_68 Depth=3
	v_mul_f64 v[14:15], v[10:11], v[22:23]
	s_cbranch_execnz .LBB9_73
.LBB9_72:                               ;   in Loop: Header=BB9_68 Depth=3
	v_mul_f64 v[10:11], v[18:19], v[18:19]
	v_div_scale_f64 v[14:15], s[52:53], v[20:21], v[20:21], v[10:11]
	v_div_scale_f64 v[25:26], vcc, v[10:11], v[20:21], v[10:11]
	v_rcp_f64_e32 v[16:17], v[14:15]
	v_fma_f64 v[22:23], -v[14:15], v[16:17], 1.0
	v_fma_f64 v[16:17], v[16:17], v[22:23], v[16:17]
	v_fma_f64 v[22:23], -v[14:15], v[16:17], 1.0
	v_fma_f64 v[16:17], v[16:17], v[22:23], v[16:17]
	v_mul_f64 v[22:23], v[25:26], v[16:17]
	v_fma_f64 v[14:15], -v[14:15], v[22:23], v[25:26]
	v_div_fmas_f64 v[14:15], v[14:15], v[16:17], v[22:23]
	v_div_fixup_f64 v[14:15], v[14:15], v[20:21], v[10:11]
.LBB9_73:                               ;   in Loop: Header=BB9_68 Depth=3
	s_add_i32 s9, s9, -1
	s_add_i32 s39, s8, s9
	s_cmp_le_i32 s39, s38
	s_cbranch_scc1 .LBB9_97
; %bb.74:                               ;   in Loop: Header=BB9_68 Depth=3
	v_mov_b32_e32 v10, v20
	v_mov_b32_e32 v16, v18
	s_mov_b64 s[56:57], s[50:51]
	s_mov_b64 s[52:53], s[54:55]
	v_mov_b32_e32 v11, v21
	v_mov_b32_e32 v17, v19
	s_branch .LBB9_68
.LBB9_75:                               ;   in Loop: Header=BB9_68 Depth=3
                                        ; implicit-def: $vgpr14_vgpr15
	s_branch .LBB9_72
.LBB9_76:                               ;   in Loop: Header=BB9_54 Depth=2
	s_mov_b32 s38, s9
	s_cbranch_execz .LBB9_53
	s_branch .LBB9_100
.LBB9_77:                               ;   in Loop: Header=BB9_54 Depth=2
	s_mov_b64 s[46:47], -1
	s_mov_b64 s[48:49], 0
                                        ; implicit-def: $sgpr9
.LBB9_78:                               ;   in Loop: Header=BB9_54 Depth=2
	s_and_b64 vcc, exec, s[46:47]
	s_cbranch_vccz .LBB9_99
.LBB9_79:                               ;   in Loop: Header=BB9_54 Depth=2
	s_add_u32 s44, s14, s44
	s_addc_u32 s45, s15, s45
	global_load_dwordx2 v[8:9], v2, s[44:45]
	s_waitcnt vmcnt(0)
	v_cmp_gt_f64_e32 vcc, s[16:17], v[8:9]
	s_and_b64 s[46:47], vcc, exec
	s_cselect_b32 s9, 0x100, 0
	v_ldexp_f64 v[8:9], v[8:9], s9
	s_cselect_b32 s39, 0xffffff80, 0
	s_ashr_i32 s9, s8, 31
	s_lshl_b64 s[8:9], s[8:9], 3
	s_add_u32 s46, s58, s8
	s_addc_u32 s47, s59, s9
	global_load_dwordx2 v[14:15], v2, s[46:47]
	v_rsq_f64_e32 v[10:11], v[8:9]
	v_cmp_class_f64_e32 vcc, v[8:9], v24
	v_mul_f64 v[12:13], v[8:9], v[10:11]
	v_mul_f64 v[10:11], v[10:11], 0.5
	v_fma_f64 v[16:17], -v[10:11], v[12:13], 0.5
	v_fma_f64 v[12:13], v[12:13], v[16:17], v[12:13]
	v_fma_f64 v[10:11], v[10:11], v[16:17], v[10:11]
	v_fma_f64 v[16:17], -v[12:13], v[12:13], v[8:9]
	v_fma_f64 v[12:13], v[16:17], v[10:11], v[12:13]
	v_fma_f64 v[16:17], -v[12:13], v[12:13], v[8:9]
	v_fma_f64 v[10:11], v[16:17], v[10:11], v[12:13]
	v_ldexp_f64 v[10:11], v[10:11], s39
	v_cndmask_b32_e32 v9, v11, v9, vcc
	v_cndmask_b32_e32 v8, v10, v8, vcc
	s_waitcnt vmcnt(0)
	v_add_f64 v[10:11], v[6:7], -v[14:15]
	v_add_f64 v[16:17], v[8:9], v[8:9]
	v_cmp_ngt_f64_e64 s[8:9], |v[10:11]|, |v[16:17]|
	s_and_b64 vcc, exec, s[8:9]
	s_cbranch_vccz .LBB9_82
; %bb.80:                               ;   in Loop: Header=BB9_54 Depth=2
	v_cmp_nlt_f64_e64 s[8:9], |v[10:11]|, |v[16:17]|
	s_and_b64 vcc, exec, s[8:9]
	s_cbranch_vccz .LBB9_83
; %bb.81:                               ;   in Loop: Header=BB9_54 Depth=2
	v_mul_f64 v[12:13], |v[16:17]|, s[24:25]
	s_cbranch_execz .LBB9_84
	s_branch .LBB9_85
.LBB9_82:                               ;   in Loop: Header=BB9_54 Depth=2
                                        ; implicit-def: $vgpr12_vgpr13
	s_branch .LBB9_86
.LBB9_83:                               ;   in Loop: Header=BB9_54 Depth=2
                                        ; implicit-def: $vgpr12_vgpr13
.LBB9_84:                               ;   in Loop: Header=BB9_54 Depth=2
	v_and_b32_e32 v13, 0x7fffffff, v11
	v_mov_b32_e32 v12, v10
	v_and_b32_e32 v19, 0x7fffffff, v17
	v_mov_b32_e32 v18, v16
	v_div_scale_f64 v[20:21], s[8:9], v[18:19], v[18:19], v[12:13]
	v_div_scale_f64 v[12:13], vcc, v[12:13], v[18:19], v[12:13]
	v_rcp_f64_e32 v[22:23], v[20:21]
	v_fma_f64 v[25:26], -v[20:21], v[22:23], 1.0
	v_fma_f64 v[22:23], v[22:23], v[25:26], v[22:23]
	v_fma_f64 v[18:19], -v[20:21], v[22:23], 1.0
	v_fma_f64 v[18:19], v[22:23], v[18:19], v[22:23]
	v_mul_f64 v[22:23], v[12:13], v[18:19]
	v_fma_f64 v[12:13], -v[20:21], v[22:23], v[12:13]
	v_div_fmas_f64 v[12:13], v[12:13], v[18:19], v[22:23]
	v_div_fixup_f64 v[12:13], v[12:13], |v[16:17]|, |v[10:11]|
	v_fma_f64 v[12:13], v[12:13], v[12:13], 1.0
	v_cmp_gt_f64_e32 vcc, s[16:17], v[12:13]
	s_and_b64 s[8:9], vcc, exec
	s_cselect_b32 s8, 0x100, 0
	v_ldexp_f64 v[12:13], v[12:13], s8
	s_cselect_b32 s8, 0xffffff80, 0
	v_rsq_f64_e32 v[18:19], v[12:13]
	v_cmp_class_f64_e32 vcc, v[12:13], v24
	v_mul_f64 v[20:21], v[12:13], v[18:19]
	v_mul_f64 v[18:19], v[18:19], 0.5
	v_fma_f64 v[22:23], -v[18:19], v[20:21], 0.5
	v_fma_f64 v[20:21], v[20:21], v[22:23], v[20:21]
	v_fma_f64 v[18:19], v[18:19], v[22:23], v[18:19]
	v_fma_f64 v[22:23], -v[20:21], v[20:21], v[12:13]
	v_fma_f64 v[20:21], v[22:23], v[18:19], v[20:21]
	v_fma_f64 v[22:23], -v[20:21], v[20:21], v[12:13]
	v_fma_f64 v[18:19], v[22:23], v[18:19], v[20:21]
	v_ldexp_f64 v[18:19], v[18:19], s8
	v_cndmask_b32_e32 v13, v19, v13, vcc
	v_cndmask_b32_e32 v12, v18, v12, vcc
	v_mul_f64 v[12:13], |v[16:17]|, v[12:13]
.LBB9_85:                               ;   in Loop: Header=BB9_54 Depth=2
	s_cbranch_execnz .LBB9_87
.LBB9_86:                               ;   in Loop: Header=BB9_54 Depth=2
	v_and_b32_e32 v13, 0x7fffffff, v17
	v_mov_b32_e32 v12, v16
	v_and_b32_e32 v19, 0x7fffffff, v11
	v_mov_b32_e32 v18, v10
	v_div_scale_f64 v[20:21], s[8:9], v[18:19], v[18:19], v[12:13]
	v_div_scale_f64 v[12:13], vcc, v[12:13], v[18:19], v[12:13]
	v_rcp_f64_e32 v[22:23], v[20:21]
	v_fma_f64 v[25:26], -v[20:21], v[22:23], 1.0
	v_fma_f64 v[22:23], v[22:23], v[25:26], v[22:23]
	v_fma_f64 v[18:19], -v[20:21], v[22:23], 1.0
	v_fma_f64 v[18:19], v[22:23], v[18:19], v[22:23]
	v_mul_f64 v[22:23], v[12:13], v[18:19]
	v_fma_f64 v[12:13], -v[20:21], v[22:23], v[12:13]
	v_div_fmas_f64 v[12:13], v[12:13], v[18:19], v[22:23]
	v_div_fixup_f64 v[12:13], v[12:13], |v[10:11]|, |v[16:17]|
	v_fma_f64 v[12:13], v[12:13], v[12:13], 1.0
	v_cmp_gt_f64_e32 vcc, s[16:17], v[12:13]
	s_and_b64 s[8:9], vcc, exec
	s_cselect_b32 s8, 0x100, 0
	v_ldexp_f64 v[12:13], v[12:13], s8
	s_cselect_b32 s8, 0xffffff80, 0
	v_rsq_f64_e32 v[16:17], v[12:13]
	v_cmp_class_f64_e32 vcc, v[12:13], v24
	v_mul_f64 v[18:19], v[12:13], v[16:17]
	v_mul_f64 v[16:17], v[16:17], 0.5
	v_fma_f64 v[20:21], -v[16:17], v[18:19], 0.5
	v_fma_f64 v[18:19], v[18:19], v[20:21], v[18:19]
	v_fma_f64 v[16:17], v[16:17], v[20:21], v[16:17]
	v_fma_f64 v[20:21], -v[18:19], v[18:19], v[12:13]
	v_fma_f64 v[18:19], v[20:21], v[16:17], v[18:19]
	v_fma_f64 v[20:21], -v[18:19], v[18:19], v[12:13]
	v_fma_f64 v[16:17], v[20:21], v[16:17], v[18:19]
	v_ldexp_f64 v[16:17], v[16:17], s8
	v_cndmask_b32_e32 v13, v17, v13, vcc
	v_cndmask_b32_e32 v12, v16, v12, vcc
	v_mul_f64 v[12:13], |v[10:11]|, v[12:13]
.LBB9_87:                               ;   in Loop: Header=BB9_54 Depth=2
	v_add_f64 v[16:17], v[6:7], v[14:15]
	v_cmp_gt_f64_e64 vcc, |v[6:7]|, |v[14:15]|
	v_cmp_ngt_f64_e64 s[8:9], 0, v[16:17]
	v_cndmask_b32_e32 v11, v7, v15, vcc
	v_cndmask_b32_e32 v10, v6, v14, vcc
	;; [unrolled: 1-line block ×4, first 2 shown]
	s_and_b64 vcc, exec, s[8:9]
	s_cbranch_vccz .LBB9_90
; %bb.88:                               ;   in Loop: Header=BB9_54 Depth=2
	v_cmp_nlt_f64_e32 vcc, 0, v[16:17]
	s_cbranch_vccz .LBB9_91
; %bb.89:                               ;   in Loop: Header=BB9_54 Depth=2
	v_mul_f64 v[6:7], v[12:13], 0.5
	v_mul_f64 v[18:19], v[12:13], -0.5
	s_cbranch_execz .LBB9_92
	s_branch .LBB9_93
.LBB9_90:                               ;   in Loop: Header=BB9_54 Depth=2
                                        ; implicit-def: $vgpr18_vgpr19
                                        ; implicit-def: $vgpr6_vgpr7
	s_branch .LBB9_94
.LBB9_91:                               ;   in Loop: Header=BB9_54 Depth=2
                                        ; implicit-def: $vgpr18_vgpr19
                                        ; implicit-def: $vgpr6_vgpr7
.LBB9_92:                               ;   in Loop: Header=BB9_54 Depth=2
	v_add_f64 v[6:7], v[16:17], v[12:13]
	v_mul_f64 v[6:7], v[6:7], 0.5
	v_div_scale_f64 v[18:19], s[8:9], v[6:7], v[6:7], v[14:15]
	v_rcp_f64_e32 v[20:21], v[18:19]
	v_fma_f64 v[22:23], -v[18:19], v[20:21], 1.0
	v_fma_f64 v[20:21], v[20:21], v[22:23], v[20:21]
	v_fma_f64 v[22:23], -v[18:19], v[20:21], 1.0
	v_fma_f64 v[20:21], v[20:21], v[22:23], v[20:21]
	v_div_scale_f64 v[22:23], vcc, v[14:15], v[6:7], v[14:15]
	v_mul_f64 v[25:26], v[22:23], v[20:21]
	v_fma_f64 v[18:19], -v[18:19], v[25:26], v[22:23]
	s_nop 1
	v_div_fmas_f64 v[18:19], v[18:19], v[20:21], v[25:26]
	v_div_scale_f64 v[20:21], s[8:9], v[6:7], v[6:7], v[8:9]
	v_div_fixup_f64 v[18:19], v[18:19], v[6:7], v[14:15]
	v_rcp_f64_e32 v[22:23], v[20:21]
	v_fma_f64 v[25:26], -v[20:21], v[22:23], 1.0
	v_fma_f64 v[22:23], v[22:23], v[25:26], v[22:23]
	v_fma_f64 v[25:26], -v[20:21], v[22:23], 1.0
	v_fma_f64 v[22:23], v[22:23], v[25:26], v[22:23]
	v_div_scale_f64 v[25:26], vcc, v[8:9], v[6:7], v[8:9]
	v_mul_f64 v[27:28], v[25:26], v[22:23]
	v_fma_f64 v[20:21], -v[20:21], v[27:28], v[25:26]
	s_nop 1
	v_div_fmas_f64 v[20:21], v[20:21], v[22:23], v[27:28]
	v_div_fixup_f64 v[20:21], v[20:21], v[6:7], v[8:9]
	v_mul_f64 v[20:21], v[8:9], v[20:21]
	v_fma_f64 v[18:19], v[10:11], v[18:19], -v[20:21]
.LBB9_93:                               ;   in Loop: Header=BB9_54 Depth=2
	s_cbranch_execnz .LBB9_95
.LBB9_94:                               ;   in Loop: Header=BB9_54 Depth=2
	v_add_f64 v[6:7], v[16:17], -v[12:13]
	v_mul_f64 v[6:7], v[6:7], 0.5
	v_div_scale_f64 v[12:13], s[8:9], v[6:7], v[6:7], v[14:15]
	v_rcp_f64_e32 v[16:17], v[12:13]
	v_fma_f64 v[18:19], -v[12:13], v[16:17], 1.0
	v_fma_f64 v[16:17], v[16:17], v[18:19], v[16:17]
	v_fma_f64 v[18:19], -v[12:13], v[16:17], 1.0
	v_fma_f64 v[16:17], v[16:17], v[18:19], v[16:17]
	v_div_scale_f64 v[18:19], vcc, v[14:15], v[6:7], v[14:15]
	v_mul_f64 v[20:21], v[18:19], v[16:17]
	v_fma_f64 v[12:13], -v[12:13], v[20:21], v[18:19]
	s_nop 1
	v_div_fmas_f64 v[12:13], v[12:13], v[16:17], v[20:21]
	v_div_fixup_f64 v[12:13], v[12:13], v[6:7], v[14:15]
	v_div_scale_f64 v[14:15], s[8:9], v[6:7], v[6:7], v[8:9]
	v_rcp_f64_e32 v[16:17], v[14:15]
	v_fma_f64 v[18:19], -v[14:15], v[16:17], 1.0
	v_fma_f64 v[16:17], v[16:17], v[18:19], v[16:17]
	v_fma_f64 v[18:19], -v[14:15], v[16:17], 1.0
	v_fma_f64 v[16:17], v[16:17], v[18:19], v[16:17]
	v_div_scale_f64 v[18:19], vcc, v[8:9], v[6:7], v[8:9]
	v_mul_f64 v[20:21], v[18:19], v[16:17]
	v_fma_f64 v[14:15], -v[14:15], v[20:21], v[18:19]
	s_nop 1
	v_div_fmas_f64 v[14:15], v[14:15], v[16:17], v[20:21]
	v_div_fixup_f64 v[14:15], v[14:15], v[6:7], v[8:9]
	v_mul_f64 v[8:9], v[8:9], v[14:15]
	v_fma_f64 v[18:19], v[10:11], v[12:13], -v[8:9]
.LBB9_95:                               ;   in Loop: Header=BB9_54 Depth=2
	v_mov_b32_e32 v3, v2
	global_store_dwordx2 v2, v[6:7], s[42:43]
	global_store_dwordx2 v2, v[18:19], s[46:47]
	;; [unrolled: 1-line block ×3, first 2 shown]
	s_add_i32 s38, s38, 2
	s_cbranch_execz .LBB9_53
	s_branch .LBB9_100
.LBB9_96:                               ;   in Loop: Header=BB9_54 Depth=2
	v_mov_b32_e32 v19, v17
	v_mov_b32_e32 v18, v16
.LBB9_97:                               ;   in Loop: Header=BB9_54 Depth=2
	v_mov_b32_e32 v10, v14
	v_mov_b32_e32 v11, v15
.LBB9_98:                               ;   in Loop: Header=BB9_54 Depth=2
	v_mul_f64 v[10:11], v[12:13], v[10:11]
	v_add_f64 v[8:9], v[8:9], v[18:19]
	s_add_i32 s9, s37, 1
	global_store_dwordx2 v2, v[10:11], s[48:49]
	global_store_dwordx2 v2, v[8:9], s[42:43]
	s_mov_b64 s[48:49], -1
	s_and_b64 vcc, exec, s[46:47]
	s_cbranch_vccnz .LBB9_79
.LBB9_99:                               ;   in Loop: Header=BB9_54 Depth=2
	s_mov_b32 s37, s9
	s_and_b64 vcc, exec, s[48:49]
	s_cbranch_vccz .LBB9_53
.LBB9_100:                              ;   in Loop: Header=BB9_54 Depth=2
	s_cmp_gt_i32 s38, s29
	s_cselect_b64 s[8:9], -1, 0
	s_cmp_ge_i32 s37, s60
	s_cselect_b64 s[40:41], -1, 0
	s_or_b64 s[40:41], s[8:9], s[40:41]
	s_branch .LBB9_53
.LBB9_101:                              ;   in Loop: Header=BB9_102 Depth=2
	s_andn2_b64 vcc, exec, s[8:9]
	s_cbranch_vccz .LBB9_43
.LBB9_102:                              ;   Parent Loop BB9_3 Depth=1
                                        ; =>  This Loop Header: Depth=2
                                        ;       Child Loop BB9_104 Depth 3
                                        ;       Child Loop BB9_117 Depth 3
	s_ashr_i32 s37, s36, 31
	s_min_i32 s2, s29, s36
	s_lshl_b64 s[42:43], s[36:37], 3
	s_add_u32 s38, s66, s42
	s_addc_u32 s39, s67, s43
	s_add_u32 s8, s70, s42
	s_addc_u32 s9, s71, s43
	s_mov_b32 s3, s36
	s_mov_b64 s[40:41], -1
	s_cmp_le_i32 s3, s29
	s_mov_b64 s[44:45], -1
                                        ; implicit-def: $sgpr37
	s_cbranch_scc1 .LBB9_104
.LBB9_103:                              ;   in Loop: Header=BB9_102 Depth=2
	global_load_dwordx4 v[6:9], v2, s[38:39] offset:-8
	global_load_dwordx2 v[10:11], v2, s[8:9] offset:-16
	s_add_i32 s37, s3, -1
	s_add_u32 s38, s38, -8
	s_addc_u32 s39, s39, -1
	s_add_u32 s8, s8, -8
	s_addc_u32 s9, s9, -1
	s_mov_b64 s[40:41], 0
	s_waitcnt vmcnt(1)
	v_mul_f64 v[6:7], v[8:9], v[6:7]
	v_mul_f64 v[6:7], v[0:1], |v[6:7]|
	s_waitcnt vmcnt(0)
	v_cmp_le_f64_e64 s[44:45], |v[10:11]|, v[6:7]
.LBB9_104:                              ;   Parent Loop BB9_3 Depth=1
                                        ;     Parent Loop BB9_102 Depth=2
                                        ; =>    This Inner Loop Header: Depth=3
	s_andn2_b64 vcc, exec, s[44:45]
	s_cbranch_vccz .LBB9_106
; %bb.105:                              ;   in Loop: Header=BB9_104 Depth=3
	s_mov_b32 s3, s37
	s_mov_b64 s[40:41], -1
	s_cmp_le_i32 s3, s29
	s_mov_b64 s[44:45], -1
                                        ; implicit-def: $sgpr37
	s_cbranch_scc0 .LBB9_103
	s_branch .LBB9_104
.LBB9_106:                              ;   in Loop: Header=BB9_102 Depth=2
	s_andn2_b64 vcc, exec, s[40:41]
	s_cbranch_vccz .LBB9_108
; %bb.107:                              ;   in Loop: Header=BB9_102 Depth=2
	v_mov_b32_e32 v3, v2
	s_mov_b32 s2, s3
	global_store_dwordx2 v2, v[2:3], s[8:9] offset:-8
.LBB9_108:                              ;   in Loop: Header=BB9_102 Depth=2
	s_add_i32 s3, s36, -1
	s_cmp_eq_u32 s2, s36
	s_mov_b64 s[8:9], -1
	s_cbranch_scc1 .LBB9_123
; %bb.109:                              ;   in Loop: Header=BB9_102 Depth=2
	s_add_u32 s38, s58, s42
	s_addc_u32 s39, s59, s43
	global_load_dwordx2 v[6:7], v2, s[38:39]
	s_cmp_lg_u32 s2, s3
	s_cbranch_scc0 .LBB9_124
; %bb.110:                              ;   in Loop: Header=BB9_102 Depth=2
	s_mov_b64 s[40:41], 0
	s_cmp_lg_u32 s73, s60
	s_mov_b32 s3, s60
	s_mov_b64 s[44:45], 0
	s_cbranch_scc0 .LBB9_125
; %bb.111:                              ;   in Loop: Header=BB9_102 Depth=2
	s_add_u32 s42, s14, s42
	s_addc_u32 s43, s15, s43
	global_load_dwordx2 v[8:9], v2, s[42:43] offset:-8
	global_load_dwordx2 v[10:11], v2, s[38:39] offset:-8
	s_waitcnt vmcnt(1)
	v_cmp_gt_f64_e32 vcc, s[16:17], v[8:9]
	s_waitcnt vmcnt(0)
	v_add_f64 v[10:11], v[10:11], -v[6:7]
	s_and_b64 s[44:45], vcc, exec
	s_cselect_b32 s3, 0x100, 0
	v_ldexp_f64 v[8:9], v[8:9], s3
	s_cselect_b32 s3, 0xffffff80, 0
	v_rsq_f64_e32 v[12:13], v[8:9]
	v_cmp_class_f64_e32 vcc, v[8:9], v24
	v_mul_f64 v[14:15], v[8:9], v[12:13]
	v_mul_f64 v[12:13], v[12:13], 0.5
	v_fma_f64 v[16:17], -v[12:13], v[14:15], 0.5
	v_fma_f64 v[14:15], v[14:15], v[16:17], v[14:15]
	v_fma_f64 v[12:13], v[12:13], v[16:17], v[12:13]
	v_fma_f64 v[16:17], -v[14:15], v[14:15], v[8:9]
	v_fma_f64 v[14:15], v[16:17], v[12:13], v[14:15]
	v_fma_f64 v[16:17], -v[14:15], v[14:15], v[8:9]
	v_fma_f64 v[12:13], v[16:17], v[12:13], v[14:15]
	v_ldexp_f64 v[12:13], v[12:13], s3
	v_cndmask_b32_e32 v9, v13, v9, vcc
	v_cndmask_b32_e32 v8, v12, v8, vcc
	v_add_f64 v[12:13], v[8:9], v[8:9]
	v_div_scale_f64 v[14:15], s[44:45], v[12:13], v[12:13], v[10:11]
	v_rcp_f64_e32 v[16:17], v[14:15]
	v_fma_f64 v[18:19], -v[14:15], v[16:17], 1.0
	v_fma_f64 v[16:17], v[16:17], v[18:19], v[16:17]
	v_div_scale_f64 v[18:19], vcc, v[10:11], v[12:13], v[10:11]
	v_fma_f64 v[20:21], -v[14:15], v[16:17], 1.0
	v_fma_f64 v[16:17], v[16:17], v[20:21], v[16:17]
	v_mul_f64 v[20:21], v[18:19], v[16:17]
	v_fma_f64 v[14:15], -v[14:15], v[20:21], v[18:19]
	v_div_fmas_f64 v[14:15], v[14:15], v[16:17], v[20:21]
	v_div_fixup_f64 v[10:11], v[14:15], v[12:13], v[10:11]
	v_fma_f64 v[12:13], v[10:11], v[10:11], 1.0
	v_cmp_gt_f64_e32 vcc, s[16:17], v[12:13]
	s_and_b64 s[44:45], vcc, exec
	s_cselect_b32 s3, 0x100, 0
	v_ldexp_f64 v[12:13], v[12:13], s3
	s_cselect_b32 s3, 0xffffff80, 0
	v_rsq_f64_e32 v[14:15], v[12:13]
	v_cmp_class_f64_e32 vcc, v[12:13], v24
	v_mul_f64 v[16:17], v[12:13], v[14:15]
	v_mul_f64 v[14:15], v[14:15], 0.5
	v_fma_f64 v[18:19], -v[14:15], v[16:17], 0.5
	v_fma_f64 v[16:17], v[16:17], v[18:19], v[16:17]
	v_fma_f64 v[14:15], v[14:15], v[18:19], v[14:15]
	v_fma_f64 v[18:19], -v[16:17], v[16:17], v[12:13]
	v_fma_f64 v[16:17], v[18:19], v[14:15], v[16:17]
	v_fma_f64 v[18:19], -v[16:17], v[16:17], v[12:13]
	v_fma_f64 v[14:15], v[18:19], v[14:15], v[16:17]
	v_ldexp_f64 v[14:15], v[14:15], s3
	s_ashr_i32 s3, s2, 31
	s_lshl_b64 s[46:47], s[2:3], 3
	v_cndmask_b32_e32 v3, v15, v13, vcc
	v_cndmask_b32_e32 v12, v14, v12, vcc
	v_cmp_nle_f64_e32 vcc, 0, v[10:11]
	v_and_b32_e32 v13, 0x7fffffff, v3
	v_or_b32_e32 v3, 0x80000000, v3
	v_cndmask_b32_e32 v13, v13, v3, vcc
	v_add_f64 v[10:11], v[10:11], v[12:13]
	v_div_scale_f64 v[12:13], s[44:45], v[10:11], v[10:11], v[8:9]
	s_add_u32 s44, s58, s46
	s_addc_u32 s45, s59, s47
	s_nop 2
	global_load_dwordx2 v[18:19], v2, s[44:45]
	v_div_scale_f64 v[20:21], vcc, v[8:9], v[10:11], v[8:9]
	s_cmp_ge_i32 s2, s36
	v_rcp_f64_e32 v[14:15], v[12:13]
	v_fma_f64 v[16:17], -v[12:13], v[14:15], 1.0
	v_fma_f64 v[14:15], v[14:15], v[16:17], v[14:15]
	v_fma_f64 v[16:17], -v[12:13], v[14:15], 1.0
	v_fma_f64 v[14:15], v[14:15], v[16:17], v[14:15]
	v_mul_f64 v[16:17], v[20:21], v[14:15]
	v_fma_f64 v[12:13], -v[12:13], v[16:17], v[20:21]
	v_div_fmas_f64 v[12:13], v[12:13], v[14:15], v[16:17]
	v_div_fixup_f64 v[8:9], v[12:13], v[10:11], v[8:9]
	v_mov_b32_e32 v10, 0
	v_mov_b32_e32 v11, 0
	v_add_f64 v[8:9], v[6:7], -v[8:9]
	s_waitcnt vmcnt(0)
	v_add_f64 v[16:17], v[18:19], -v[8:9]
	v_mul_f64 v[12:13], v[16:17], v[16:17]
	s_cbranch_scc1 .LBB9_145
; %bb.112:                              ;   in Loop: Header=BB9_102 Depth=2
	s_add_u32 s46, s14, s46
	s_addc_u32 s47, s15, s47
	global_load_dwordx2 v[14:15], v2, s[46:47]
	s_waitcnt vmcnt(0)
	v_add_f64 v[10:11], v[12:13], v[14:15]
	v_div_scale_f64 v[18:19], s[46:47], v[10:11], v[10:11], v[12:13]
	v_rcp_f64_e32 v[20:21], v[18:19]
	v_fma_f64 v[22:23], -v[18:19], v[20:21], 1.0
	v_fma_f64 v[20:21], v[20:21], v[22:23], v[20:21]
	v_fma_f64 v[22:23], -v[18:19], v[20:21], 1.0
	v_fma_f64 v[20:21], v[20:21], v[22:23], v[20:21]
	v_div_scale_f64 v[22:23], vcc, v[12:13], v[10:11], v[12:13]
	v_mul_f64 v[25:26], v[22:23], v[20:21]
	v_fma_f64 v[18:19], -v[18:19], v[25:26], v[22:23]
	s_nop 1
	v_div_fmas_f64 v[18:19], v[18:19], v[20:21], v[25:26]
	v_div_fixup_f64 v[12:13], v[18:19], v[10:11], v[12:13]
	v_div_scale_f64 v[18:19], s[46:47], v[10:11], v[10:11], v[14:15]
	v_rcp_f64_e32 v[20:21], v[18:19]
	v_fma_f64 v[22:23], -v[18:19], v[20:21], 1.0
	v_fma_f64 v[20:21], v[20:21], v[22:23], v[20:21]
	v_fma_f64 v[22:23], -v[18:19], v[20:21], 1.0
	v_fma_f64 v[20:21], v[20:21], v[22:23], v[20:21]
	v_div_scale_f64 v[22:23], vcc, v[14:15], v[10:11], v[14:15]
	v_mul_f64 v[25:26], v[22:23], v[20:21]
	v_fma_f64 v[18:19], -v[18:19], v[25:26], v[22:23]
	s_nop 1
	v_div_fmas_f64 v[18:19], v[18:19], v[20:21], v[25:26]
	global_load_dwordx2 v[20:21], v2, s[44:45] offset:8
	v_cmp_eq_f64_e32 vcc, 0, v[12:13]
	s_and_b64 vcc, exec, vcc
	v_div_fixup_f64 v[10:11], v[18:19], v[10:11], v[14:15]
	v_mul_f64 v[22:23], v[16:17], v[10:11]
	s_waitcnt vmcnt(0)
	v_add_f64 v[18:19], v[20:21], -v[8:9]
	v_fma_f64 v[18:19], v[12:13], v[18:19], -v[22:23]
	v_add_f64 v[20:21], v[20:21], -v[18:19]
	v_add_f64 v[16:17], v[16:17], v[20:21]
	global_store_dwordx2 v2, v[16:17], s[44:45]
	s_cbranch_vccnz .LBB9_114
; %bb.113:                              ;   in Loop: Header=BB9_102 Depth=2
	v_mul_f64 v[14:15], v[18:19], v[18:19]
	v_div_scale_f64 v[16:17], s[44:45], v[12:13], v[12:13], v[14:15]
	v_div_scale_f64 v[25:26], vcc, v[14:15], v[12:13], v[14:15]
	v_rcp_f64_e32 v[20:21], v[16:17]
	v_fma_f64 v[22:23], -v[16:17], v[20:21], 1.0
	v_fma_f64 v[20:21], v[20:21], v[22:23], v[20:21]
	v_fma_f64 v[22:23], -v[16:17], v[20:21], 1.0
	v_fma_f64 v[20:21], v[20:21], v[22:23], v[20:21]
	v_mul_f64 v[22:23], v[25:26], v[20:21]
	v_fma_f64 v[16:17], -v[16:17], v[22:23], v[25:26]
	v_div_fmas_f64 v[16:17], v[16:17], v[20:21], v[22:23]
	v_div_fixup_f64 v[14:15], v[16:17], v[12:13], v[14:15]
.LBB9_114:                              ;   in Loop: Header=BB9_102 Depth=2
	s_add_i32 s44, s2, 1
	s_cmp_ge_i32 s44, s36
	s_cbranch_scc1 .LBB9_143
; %bb.115:                              ;   in Loop: Header=BB9_102 Depth=2
	s_ashr_i32 s45, s44, 31
	s_lshl_b64 s[46:47], s[44:45], 3
	s_add_u32 s44, s62, s46
	s_addc_u32 s45, s63, s47
	s_add_u32 s46, s68, s46
	s_addc_u32 s47, s69, s47
	s_mov_b32 s3, 1
	global_load_dwordx2 v[22:23], v2, s[44:45]
	s_cmp_eq_u32 s3, 0
	s_waitcnt vmcnt(0)
	v_add_f64 v[16:17], v[14:15], v[22:23]
	s_cbranch_scc1 .LBB9_117
.LBB9_116:                              ;   in Loop: Header=BB9_102 Depth=2
	v_mul_f64 v[10:11], v[10:11], v[16:17]
	global_store_dwordx2 v2, v[10:11], s[44:45] offset:-8
.LBB9_117:                              ;   Parent Loop BB9_3 Depth=1
                                        ;     Parent Loop BB9_102 Depth=2
                                        ; =>    This Inner Loop Header: Depth=3
	v_div_scale_f64 v[10:11], s[48:49], v[16:17], v[16:17], v[14:15]
	v_rcp_f64_e32 v[20:21], v[10:11]
	v_fma_f64 v[25:26], -v[10:11], v[20:21], 1.0
	v_fma_f64 v[20:21], v[20:21], v[25:26], v[20:21]
	v_fma_f64 v[25:26], -v[10:11], v[20:21], 1.0
	v_fma_f64 v[20:21], v[20:21], v[25:26], v[20:21]
	v_div_scale_f64 v[25:26], vcc, v[14:15], v[16:17], v[14:15]
	v_mul_f64 v[27:28], v[25:26], v[20:21]
	v_fma_f64 v[10:11], -v[10:11], v[27:28], v[25:26]
	s_nop 1
	v_div_fmas_f64 v[10:11], v[10:11], v[20:21], v[27:28]
	v_div_fixup_f64 v[20:21], v[10:11], v[16:17], v[14:15]
	v_div_scale_f64 v[10:11], s[48:49], v[16:17], v[16:17], v[22:23]
	v_rcp_f64_e32 v[14:15], v[10:11]
	v_fma_f64 v[25:26], -v[10:11], v[14:15], 1.0
	v_fma_f64 v[14:15], v[14:15], v[25:26], v[14:15]
	v_fma_f64 v[25:26], -v[10:11], v[14:15], 1.0
	v_fma_f64 v[14:15], v[14:15], v[25:26], v[14:15]
	v_div_scale_f64 v[25:26], vcc, v[22:23], v[16:17], v[22:23]
	v_mul_f64 v[27:28], v[25:26], v[14:15]
	v_fma_f64 v[10:11], -v[10:11], v[27:28], v[25:26]
	s_nop 1
	v_div_fmas_f64 v[10:11], v[10:11], v[14:15], v[27:28]
	global_load_dwordx2 v[14:15], v2, s[46:47]
	v_cmp_eq_f64_e32 vcc, 0, v[20:21]
	s_and_b64 vcc, exec, vcc
	v_div_fixup_f64 v[10:11], v[10:11], v[16:17], v[22:23]
	v_mul_f64 v[25:26], v[18:19], v[10:11]
	s_waitcnt vmcnt(0)
	v_add_f64 v[16:17], v[14:15], -v[8:9]
	v_fma_f64 v[16:17], v[20:21], v[16:17], -v[25:26]
	v_add_f64 v[14:15], v[14:15], -v[16:17]
	v_add_f64 v[14:15], v[18:19], v[14:15]
	global_store_dwordx2 v2, v[14:15], s[46:47] offset:-8
	s_cbranch_vccz .LBB9_122
; %bb.118:                              ;   in Loop: Header=BB9_117 Depth=3
	v_mul_f64 v[14:15], v[12:13], v[22:23]
	s_cbranch_execnz .LBB9_120
.LBB9_119:                              ;   in Loop: Header=BB9_117 Depth=3
	v_mul_f64 v[12:13], v[16:17], v[16:17]
	v_div_scale_f64 v[14:15], s[48:49], v[20:21], v[20:21], v[12:13]
	v_div_scale_f64 v[25:26], vcc, v[12:13], v[20:21], v[12:13]
	v_rcp_f64_e32 v[18:19], v[14:15]
	v_fma_f64 v[22:23], -v[14:15], v[18:19], 1.0
	v_fma_f64 v[18:19], v[18:19], v[22:23], v[18:19]
	v_fma_f64 v[22:23], -v[14:15], v[18:19], 1.0
	v_fma_f64 v[18:19], v[18:19], v[22:23], v[18:19]
	v_mul_f64 v[22:23], v[25:26], v[18:19]
	v_fma_f64 v[14:15], -v[14:15], v[22:23], v[25:26]
	v_div_fmas_f64 v[14:15], v[14:15], v[18:19], v[22:23]
	v_div_fixup_f64 v[14:15], v[14:15], v[20:21], v[12:13]
.LBB9_120:                              ;   in Loop: Header=BB9_117 Depth=3
	s_add_i32 s3, s3, 1
	s_add_i32 s37, s2, s3
	s_add_u32 s44, s44, 8
	s_addc_u32 s45, s45, 0
	s_add_u32 s46, s46, 8
	s_addc_u32 s47, s47, 0
	s_cmp_ge_i32 s37, s36
	s_cbranch_scc1 .LBB9_144
; %bb.121:                              ;   in Loop: Header=BB9_117 Depth=3
	v_mov_b32_e32 v12, v20
	v_mov_b32_e32 v19, v17
	;; [unrolled: 1-line block ×4, first 2 shown]
	global_load_dwordx2 v[22:23], v2, s[44:45]
	s_cmp_eq_u32 s3, 0
	s_waitcnt vmcnt(0)
	v_add_f64 v[16:17], v[14:15], v[22:23]
	s_cbranch_scc0 .LBB9_116
	s_branch .LBB9_117
.LBB9_122:                              ;   in Loop: Header=BB9_117 Depth=3
                                        ; implicit-def: $vgpr14_vgpr15
	s_branch .LBB9_119
.LBB9_123:                              ;   in Loop: Header=BB9_102 Depth=2
	s_mov_b32 s36, s3
	s_cbranch_execz .LBB9_101
	s_branch .LBB9_147
.LBB9_124:                              ;   in Loop: Header=BB9_102 Depth=2
	s_mov_b64 s[40:41], -1
	s_mov_b64 s[44:45], 0
                                        ; implicit-def: $sgpr3
.LBB9_125:                              ;   in Loop: Header=BB9_102 Depth=2
	s_and_b64 vcc, exec, s[40:41]
	s_cbranch_vccz .LBB9_146
.LBB9_126:                              ;   in Loop: Header=BB9_102 Depth=2
	s_ashr_i32 s3, s2, 31
	s_lshl_b64 s[2:3], s[2:3], 3
	s_add_u32 s40, s14, s2
	s_addc_u32 s41, s15, s3
	global_load_dwordx2 v[8:9], v2, s[40:41]
	s_waitcnt vmcnt(0)
	v_cmp_gt_f64_e32 vcc, s[16:17], v[8:9]
	s_and_b64 s[42:43], vcc, exec
	s_cselect_b32 s37, 0x100, 0
	v_ldexp_f64 v[8:9], v[8:9], s37
	s_cselect_b32 s37, 0xffffff80, 0
	s_add_u32 s42, s58, s2
	s_addc_u32 s43, s59, s3
	global_load_dwordx2 v[10:11], v2, s[42:43]
	v_rsq_f64_e32 v[12:13], v[8:9]
	v_cmp_class_f64_e32 vcc, v[8:9], v24
	v_mul_f64 v[14:15], v[8:9], v[12:13]
	v_mul_f64 v[12:13], v[12:13], 0.5
	v_fma_f64 v[16:17], -v[12:13], v[14:15], 0.5
	v_fma_f64 v[14:15], v[14:15], v[16:17], v[14:15]
	v_fma_f64 v[12:13], v[12:13], v[16:17], v[12:13]
	v_fma_f64 v[16:17], -v[14:15], v[14:15], v[8:9]
	v_fma_f64 v[14:15], v[16:17], v[12:13], v[14:15]
	v_fma_f64 v[16:17], -v[14:15], v[14:15], v[8:9]
	v_fma_f64 v[12:13], v[16:17], v[12:13], v[14:15]
	v_ldexp_f64 v[12:13], v[12:13], s37
	s_waitcnt vmcnt(0)
	v_add_f64 v[14:15], v[6:7], -v[10:11]
	v_cndmask_b32_e32 v9, v13, v9, vcc
	v_cndmask_b32_e32 v8, v12, v8, vcc
	v_add_f64 v[16:17], v[8:9], v[8:9]
	v_cmp_ngt_f64_e64 s[2:3], |v[14:15]|, |v[16:17]|
	s_and_b64 vcc, exec, s[2:3]
	s_cbranch_vccz .LBB9_129
; %bb.127:                              ;   in Loop: Header=BB9_102 Depth=2
	v_cmp_nlt_f64_e64 s[2:3], |v[14:15]|, |v[16:17]|
	s_and_b64 vcc, exec, s[2:3]
	s_cbranch_vccz .LBB9_130
; %bb.128:                              ;   in Loop: Header=BB9_102 Depth=2
	v_mul_f64 v[12:13], |v[16:17]|, s[24:25]
	s_cbranch_execz .LBB9_131
	s_branch .LBB9_132
.LBB9_129:                              ;   in Loop: Header=BB9_102 Depth=2
                                        ; implicit-def: $vgpr12_vgpr13
	s_branch .LBB9_133
.LBB9_130:                              ;   in Loop: Header=BB9_102 Depth=2
                                        ; implicit-def: $vgpr12_vgpr13
.LBB9_131:                              ;   in Loop: Header=BB9_102 Depth=2
	v_and_b32_e32 v13, 0x7fffffff, v15
	v_mov_b32_e32 v12, v14
	v_and_b32_e32 v19, 0x7fffffff, v17
	v_mov_b32_e32 v18, v16
	v_div_scale_f64 v[20:21], s[2:3], v[18:19], v[18:19], v[12:13]
	v_div_scale_f64 v[12:13], vcc, v[12:13], v[18:19], v[12:13]
	v_rcp_f64_e32 v[22:23], v[20:21]
	v_fma_f64 v[25:26], -v[20:21], v[22:23], 1.0
	v_fma_f64 v[22:23], v[22:23], v[25:26], v[22:23]
	v_fma_f64 v[18:19], -v[20:21], v[22:23], 1.0
	v_fma_f64 v[18:19], v[22:23], v[18:19], v[22:23]
	v_mul_f64 v[22:23], v[12:13], v[18:19]
	v_fma_f64 v[12:13], -v[20:21], v[22:23], v[12:13]
	v_div_fmas_f64 v[12:13], v[12:13], v[18:19], v[22:23]
	v_div_fixup_f64 v[12:13], v[12:13], |v[16:17]|, |v[14:15]|
	v_fma_f64 v[12:13], v[12:13], v[12:13], 1.0
	v_cmp_gt_f64_e32 vcc, s[16:17], v[12:13]
	s_and_b64 s[2:3], vcc, exec
	s_cselect_b32 s2, 0x100, 0
	v_ldexp_f64 v[12:13], v[12:13], s2
	s_cselect_b32 s2, 0xffffff80, 0
	v_rsq_f64_e32 v[18:19], v[12:13]
	v_cmp_class_f64_e32 vcc, v[12:13], v24
	v_mul_f64 v[20:21], v[12:13], v[18:19]
	v_mul_f64 v[18:19], v[18:19], 0.5
	v_fma_f64 v[22:23], -v[18:19], v[20:21], 0.5
	v_fma_f64 v[20:21], v[20:21], v[22:23], v[20:21]
	v_fma_f64 v[18:19], v[18:19], v[22:23], v[18:19]
	v_fma_f64 v[22:23], -v[20:21], v[20:21], v[12:13]
	v_fma_f64 v[20:21], v[22:23], v[18:19], v[20:21]
	v_fma_f64 v[22:23], -v[20:21], v[20:21], v[12:13]
	v_fma_f64 v[18:19], v[22:23], v[18:19], v[20:21]
	v_ldexp_f64 v[18:19], v[18:19], s2
	v_cndmask_b32_e32 v13, v19, v13, vcc
	v_cndmask_b32_e32 v12, v18, v12, vcc
	v_mul_f64 v[12:13], |v[16:17]|, v[12:13]
.LBB9_132:                              ;   in Loop: Header=BB9_102 Depth=2
	s_cbranch_execnz .LBB9_134
.LBB9_133:                              ;   in Loop: Header=BB9_102 Depth=2
	v_and_b32_e32 v13, 0x7fffffff, v17
	v_mov_b32_e32 v12, v16
	v_and_b32_e32 v19, 0x7fffffff, v15
	v_mov_b32_e32 v18, v14
	v_div_scale_f64 v[20:21], s[2:3], v[18:19], v[18:19], v[12:13]
	v_div_scale_f64 v[12:13], vcc, v[12:13], v[18:19], v[12:13]
	v_rcp_f64_e32 v[22:23], v[20:21]
	v_fma_f64 v[25:26], -v[20:21], v[22:23], 1.0
	v_fma_f64 v[22:23], v[22:23], v[25:26], v[22:23]
	v_fma_f64 v[18:19], -v[20:21], v[22:23], 1.0
	v_fma_f64 v[18:19], v[22:23], v[18:19], v[22:23]
	v_mul_f64 v[22:23], v[12:13], v[18:19]
	v_fma_f64 v[12:13], -v[20:21], v[22:23], v[12:13]
	v_div_fmas_f64 v[12:13], v[12:13], v[18:19], v[22:23]
	v_div_fixup_f64 v[12:13], v[12:13], |v[14:15]|, |v[16:17]|
	v_fma_f64 v[12:13], v[12:13], v[12:13], 1.0
	v_cmp_gt_f64_e32 vcc, s[16:17], v[12:13]
	s_and_b64 s[2:3], vcc, exec
	s_cselect_b32 s2, 0x100, 0
	v_ldexp_f64 v[12:13], v[12:13], s2
	s_cselect_b32 s2, 0xffffff80, 0
	v_rsq_f64_e32 v[16:17], v[12:13]
	v_cmp_class_f64_e32 vcc, v[12:13], v24
	v_mul_f64 v[18:19], v[12:13], v[16:17]
	v_mul_f64 v[16:17], v[16:17], 0.5
	v_fma_f64 v[20:21], -v[16:17], v[18:19], 0.5
	v_fma_f64 v[18:19], v[18:19], v[20:21], v[18:19]
	v_fma_f64 v[16:17], v[16:17], v[20:21], v[16:17]
	v_fma_f64 v[20:21], -v[18:19], v[18:19], v[12:13]
	v_fma_f64 v[18:19], v[20:21], v[16:17], v[18:19]
	v_fma_f64 v[20:21], -v[18:19], v[18:19], v[12:13]
	v_fma_f64 v[16:17], v[20:21], v[16:17], v[18:19]
	v_ldexp_f64 v[16:17], v[16:17], s2
	v_cndmask_b32_e32 v13, v17, v13, vcc
	v_cndmask_b32_e32 v12, v16, v12, vcc
	v_mul_f64 v[12:13], |v[14:15]|, v[12:13]
.LBB9_134:                              ;   in Loop: Header=BB9_102 Depth=2
	v_add_f64 v[16:17], v[6:7], v[10:11]
	v_cmp_gt_f64_e64 vcc, |v[6:7]|, |v[10:11]|
	v_cmp_ngt_f64_e64 s[2:3], 0, v[16:17]
	v_cndmask_b32_e32 v15, v7, v11, vcc
	v_cndmask_b32_e32 v14, v6, v10, vcc
	;; [unrolled: 1-line block ×4, first 2 shown]
	s_and_b64 vcc, exec, s[2:3]
	s_cbranch_vccz .LBB9_137
; %bb.135:                              ;   in Loop: Header=BB9_102 Depth=2
	v_cmp_nlt_f64_e32 vcc, 0, v[16:17]
	s_cbranch_vccz .LBB9_138
; %bb.136:                              ;   in Loop: Header=BB9_102 Depth=2
	v_mul_f64 v[10:11], v[12:13], 0.5
	v_mul_f64 v[18:19], v[12:13], -0.5
	s_cbranch_execz .LBB9_139
	s_branch .LBB9_140
.LBB9_137:                              ;   in Loop: Header=BB9_102 Depth=2
                                        ; implicit-def: $vgpr18_vgpr19
                                        ; implicit-def: $vgpr10_vgpr11
	s_branch .LBB9_141
.LBB9_138:                              ;   in Loop: Header=BB9_102 Depth=2
                                        ; implicit-def: $vgpr18_vgpr19
                                        ; implicit-def: $vgpr10_vgpr11
.LBB9_139:                              ;   in Loop: Header=BB9_102 Depth=2
	v_add_f64 v[10:11], v[16:17], v[12:13]
	v_mul_f64 v[10:11], v[10:11], 0.5
	v_div_scale_f64 v[18:19], s[2:3], v[10:11], v[10:11], v[6:7]
	v_rcp_f64_e32 v[20:21], v[18:19]
	v_fma_f64 v[22:23], -v[18:19], v[20:21], 1.0
	v_fma_f64 v[20:21], v[20:21], v[22:23], v[20:21]
	v_fma_f64 v[22:23], -v[18:19], v[20:21], 1.0
	v_fma_f64 v[20:21], v[20:21], v[22:23], v[20:21]
	v_div_scale_f64 v[22:23], vcc, v[6:7], v[10:11], v[6:7]
	v_mul_f64 v[25:26], v[22:23], v[20:21]
	v_fma_f64 v[18:19], -v[18:19], v[25:26], v[22:23]
	s_nop 1
	v_div_fmas_f64 v[18:19], v[18:19], v[20:21], v[25:26]
	v_div_scale_f64 v[20:21], s[2:3], v[10:11], v[10:11], v[8:9]
	v_div_fixup_f64 v[18:19], v[18:19], v[10:11], v[6:7]
	v_rcp_f64_e32 v[22:23], v[20:21]
	v_fma_f64 v[25:26], -v[20:21], v[22:23], 1.0
	v_fma_f64 v[22:23], v[22:23], v[25:26], v[22:23]
	v_fma_f64 v[25:26], -v[20:21], v[22:23], 1.0
	v_fma_f64 v[22:23], v[22:23], v[25:26], v[22:23]
	v_div_scale_f64 v[25:26], vcc, v[8:9], v[10:11], v[8:9]
	v_mul_f64 v[27:28], v[25:26], v[22:23]
	v_fma_f64 v[20:21], -v[20:21], v[27:28], v[25:26]
	s_nop 1
	v_div_fmas_f64 v[20:21], v[20:21], v[22:23], v[27:28]
	v_div_fixup_f64 v[20:21], v[20:21], v[10:11], v[8:9]
	v_mul_f64 v[20:21], v[8:9], v[20:21]
	v_fma_f64 v[18:19], v[14:15], v[18:19], -v[20:21]
.LBB9_140:                              ;   in Loop: Header=BB9_102 Depth=2
	s_cbranch_execnz .LBB9_142
.LBB9_141:                              ;   in Loop: Header=BB9_102 Depth=2
	v_add_f64 v[10:11], v[16:17], -v[12:13]
	v_mul_f64 v[10:11], v[10:11], 0.5
	v_div_scale_f64 v[12:13], s[2:3], v[10:11], v[10:11], v[6:7]
	v_div_scale_f64 v[16:17], s[2:3], v[10:11], v[10:11], v[8:9]
	;; [unrolled: 1-line block ×3, first 2 shown]
	v_rcp_f64_e32 v[18:19], v[12:13]
	v_rcp_f64_e32 v[20:21], v[16:17]
	v_fma_f64 v[22:23], -v[12:13], v[18:19], 1.0
	v_fma_f64 v[25:26], -v[16:17], v[20:21], 1.0
	v_fma_f64 v[18:19], v[18:19], v[22:23], v[18:19]
	v_div_scale_f64 v[22:23], vcc, v[6:7], v[10:11], v[6:7]
	v_fma_f64 v[20:21], v[20:21], v[25:26], v[20:21]
	v_fma_f64 v[25:26], -v[12:13], v[18:19], 1.0
	v_fma_f64 v[29:30], -v[16:17], v[20:21], 1.0
	v_fma_f64 v[18:19], v[18:19], v[25:26], v[18:19]
	v_fma_f64 v[20:21], v[20:21], v[29:30], v[20:21]
	v_mul_f64 v[25:26], v[22:23], v[18:19]
	v_mul_f64 v[29:30], v[27:28], v[20:21]
	v_fma_f64 v[12:13], -v[12:13], v[25:26], v[22:23]
	v_fma_f64 v[16:17], -v[16:17], v[29:30], v[27:28]
	v_div_fmas_f64 v[12:13], v[12:13], v[18:19], v[25:26]
	s_mov_b64 vcc, s[2:3]
	v_div_fmas_f64 v[16:17], v[16:17], v[20:21], v[29:30]
	v_div_fixup_f64 v[6:7], v[12:13], v[10:11], v[6:7]
	v_div_fixup_f64 v[16:17], v[16:17], v[10:11], v[8:9]
	v_mul_f64 v[8:9], v[8:9], v[16:17]
	v_fma_f64 v[18:19], v[14:15], v[6:7], -v[8:9]
.LBB9_142:                              ;   in Loop: Header=BB9_102 Depth=2
	v_mov_b32_e32 v3, v2
	global_store_dwordx2 v2, v[10:11], s[38:39]
	global_store_dwordx2 v2, v[18:19], s[42:43]
	;; [unrolled: 1-line block ×3, first 2 shown]
	s_add_i32 s36, s36, -2
	s_cbranch_execz .LBB9_101
	s_branch .LBB9_147
.LBB9_143:                              ;   in Loop: Header=BB9_102 Depth=2
	v_mov_b32_e32 v16, v18
	v_mov_b32_e32 v17, v19
.LBB9_144:                              ;   in Loop: Header=BB9_102 Depth=2
	v_mov_b32_e32 v12, v14
	v_mov_b32_e32 v13, v15
.LBB9_145:                              ;   in Loop: Header=BB9_102 Depth=2
	v_mul_f64 v[10:11], v[12:13], v[10:11]
	v_add_f64 v[8:9], v[8:9], v[16:17]
	s_add_i32 s3, s73, 1
	s_mov_b64 s[44:45], -1
	global_store_dwordx2 v2, v[10:11], s[42:43] offset:-8
	global_store_dwordx2 v2, v[8:9], s[38:39]
	s_and_b64 vcc, exec, s[40:41]
	s_cbranch_vccnz .LBB9_126
.LBB9_146:                              ;   in Loop: Header=BB9_102 Depth=2
	s_mov_b32 s73, s3
	s_and_b64 vcc, exec, s[44:45]
	s_cbranch_vccz .LBB9_101
.LBB9_147:                              ;   in Loop: Header=BB9_102 Depth=2
	s_cmp_lt_i32 s36, s29
	s_cselect_b64 s[2:3], -1, 0
	s_cmp_ge_i32 s73, s60
	s_cselect_b64 s[8:9], -1, 0
	s_or_b64 s[8:9], s[2:3], s[8:9]
	s_branch .LBB9_101
.LBB9_148:
	s_cmp_lt_i32 s33, 2
	s_cbranch_scc1 .LBB9_159
; %bb.149:
	s_load_dwordx2 s[0:1], s[4:5], 0x28
	s_lshl_b64 s[4:5], s[6:7], 2
	s_mov_b32 s2, 1
	v_mov_b32_e32 v0, 0
	s_waitcnt lgkmcnt(0)
	s_add_u32 s0, s0, s4
	s_addc_u32 s1, s1, s5
	s_branch .LBB9_151
.LBB9_150:                              ;   in Loop: Header=BB9_151 Depth=1
	s_add_i32 s2, s2, 1
	s_add_u32 s14, s14, 8
	s_addc_u32 s15, s15, 0
	s_cmp_lg_u32 s33, s2
	s_cbranch_scc0 .LBB9_153
.LBB9_151:                              ; =>This Inner Loop Header: Depth=1
	global_load_dwordx2 v[1:2], v0, s[14:15]
	s_waitcnt vmcnt(0)
	v_cmp_eq_f64_e32 vcc, 0, v[1:2]
	s_cbranch_vccnz .LBB9_150
; %bb.152:                              ;   in Loop: Header=BB9_151 Depth=1
	global_load_dword v1, v0, s[0:1]
	s_waitcnt vmcnt(0)
	v_add_u32_e32 v1, 1, v1
	global_store_dword v0, v1, s[0:1]
	s_branch .LBB9_150
.LBB9_153:
	s_add_u32 s0, s12, s10
	s_addc_u32 s1, s13, s11
	s_add_u32 s0, s0, 8
	s_addc_u32 s1, s1, 0
	s_mov_b32 s2, 1
	v_mov_b32_e32 v4, 0
	s_branch .LBB9_155
.LBB9_154:                              ;   in Loop: Header=BB9_155 Depth=1
	s_add_i32 s2, s2, 1
	s_add_u32 s0, s0, 8
	s_addc_u32 s1, s1, 0
	s_cmp_lg_u32 s2, s33
	s_cbranch_scc0 .LBB9_159
.LBB9_155:                              ; =>This Loop Header: Depth=1
                                        ;     Child Loop BB9_156 Depth 2
	s_ashr_i32 s3, s2, 31
	s_add_i32 s7, s2, -1
	s_lshl_b64 s[4:5], s[2:3], 3
	s_add_u32 s4, s58, s4
	s_addc_u32 s5, s59, s5
	global_load_dwordx2 v[0:1], v4, s[4:5] offset:-8
	s_mov_b64 s[8:9], s[0:1]
	s_mov_b32 s3, s2
	s_mov_b32 s6, s7
	s_waitcnt vmcnt(0)
	v_mov_b32_e32 v3, v1
	v_mov_b32_e32 v2, v0
.LBB9_156:                              ;   Parent Loop BB9_155 Depth=1
                                        ; =>  This Inner Loop Header: Depth=2
	global_load_dwordx2 v[5:6], v4, s[8:9]
	s_waitcnt vmcnt(0)
	v_cmp_lt_f64_e32 vcc, v[5:6], v[2:3]
	s_and_b64 s[10:11], vcc, exec
	s_cselect_b32 s6, s3, s6
	s_add_i32 s3, s3, 1
	s_add_u32 s8, s8, 8
	s_addc_u32 s9, s9, 0
	v_cndmask_b32_e32 v3, v3, v6, vcc
	s_cmp_eq_u32 s33, s3
	v_cndmask_b32_e32 v2, v2, v5, vcc
	s_cbranch_scc0 .LBB9_156
; %bb.157:                              ;   in Loop: Header=BB9_155 Depth=1
	s_cmp_lg_u32 s6, s7
	s_cbranch_scc0 .LBB9_154
; %bb.158:                              ;   in Loop: Header=BB9_155 Depth=1
	s_ashr_i32 s7, s6, 31
	s_lshl_b64 s[6:7], s[6:7], 3
	s_add_u32 s6, s58, s6
	s_addc_u32 s7, s59, s7
	global_store_dwordx2 v4, v[0:1], s[6:7]
	global_store_dwordx2 v4, v[2:3], s[4:5] offset:-8
	s_branch .LBB9_154
.LBB9_159:
	s_endpgm
	.section	.rodata,"a",@progbits
	.p2align	6, 0x0
	.amdhsa_kernel _ZN9rocsolver6v33100L12sterf_kernelIdEEviPT_lS3_lPiS4_iS2_S2_S2_
		.amdhsa_group_segment_fixed_size 0
		.amdhsa_private_segment_fixed_size 0
		.amdhsa_kernarg_size 88
		.amdhsa_user_sgpr_count 6
		.amdhsa_user_sgpr_private_segment_buffer 1
		.amdhsa_user_sgpr_dispatch_ptr 0
		.amdhsa_user_sgpr_queue_ptr 0
		.amdhsa_user_sgpr_kernarg_segment_ptr 1
		.amdhsa_user_sgpr_dispatch_id 0
		.amdhsa_user_sgpr_flat_scratch_init 0
		.amdhsa_user_sgpr_private_segment_size 0
		.amdhsa_uses_dynamic_stack 0
		.amdhsa_system_sgpr_private_segment_wavefront_offset 0
		.amdhsa_system_sgpr_workgroup_id_x 1
		.amdhsa_system_sgpr_workgroup_id_y 0
		.amdhsa_system_sgpr_workgroup_id_z 0
		.amdhsa_system_sgpr_workgroup_info 0
		.amdhsa_system_vgpr_workitem_id 0
		.amdhsa_next_free_vgpr 31
		.amdhsa_next_free_sgpr 74
		.amdhsa_reserve_vcc 1
		.amdhsa_reserve_flat_scratch 0
		.amdhsa_float_round_mode_32 0
		.amdhsa_float_round_mode_16_64 0
		.amdhsa_float_denorm_mode_32 3
		.amdhsa_float_denorm_mode_16_64 3
		.amdhsa_dx10_clamp 1
		.amdhsa_ieee_mode 1
		.amdhsa_fp16_overflow 0
		.amdhsa_exception_fp_ieee_invalid_op 0
		.amdhsa_exception_fp_denorm_src 0
		.amdhsa_exception_fp_ieee_div_zero 0
		.amdhsa_exception_fp_ieee_overflow 0
		.amdhsa_exception_fp_ieee_underflow 0
		.amdhsa_exception_fp_ieee_inexact 0
		.amdhsa_exception_int_div_zero 0
	.end_amdhsa_kernel
	.section	.text._ZN9rocsolver6v33100L12sterf_kernelIdEEviPT_lS3_lPiS4_iS2_S2_S2_,"axG",@progbits,_ZN9rocsolver6v33100L12sterf_kernelIdEEviPT_lS3_lPiS4_iS2_S2_S2_,comdat
.Lfunc_end9:
	.size	_ZN9rocsolver6v33100L12sterf_kernelIdEEviPT_lS3_lPiS4_iS2_S2_S2_, .Lfunc_end9-_ZN9rocsolver6v33100L12sterf_kernelIdEEviPT_lS3_lPiS4_iS2_S2_S2_
                                        ; -- End function
	.set _ZN9rocsolver6v33100L12sterf_kernelIdEEviPT_lS3_lPiS4_iS2_S2_S2_.num_vgpr, 31
	.set _ZN9rocsolver6v33100L12sterf_kernelIdEEviPT_lS3_lPiS4_iS2_S2_S2_.num_agpr, 0
	.set _ZN9rocsolver6v33100L12sterf_kernelIdEEviPT_lS3_lPiS4_iS2_S2_S2_.numbered_sgpr, 74
	.set _ZN9rocsolver6v33100L12sterf_kernelIdEEviPT_lS3_lPiS4_iS2_S2_S2_.num_named_barrier, 0
	.set _ZN9rocsolver6v33100L12sterf_kernelIdEEviPT_lS3_lPiS4_iS2_S2_S2_.private_seg_size, 0
	.set _ZN9rocsolver6v33100L12sterf_kernelIdEEviPT_lS3_lPiS4_iS2_S2_S2_.uses_vcc, 1
	.set _ZN9rocsolver6v33100L12sterf_kernelIdEEviPT_lS3_lPiS4_iS2_S2_S2_.uses_flat_scratch, 0
	.set _ZN9rocsolver6v33100L12sterf_kernelIdEEviPT_lS3_lPiS4_iS2_S2_S2_.has_dyn_sized_stack, 0
	.set _ZN9rocsolver6v33100L12sterf_kernelIdEEviPT_lS3_lPiS4_iS2_S2_S2_.has_recursion, 0
	.set _ZN9rocsolver6v33100L12sterf_kernelIdEEviPT_lS3_lPiS4_iS2_S2_S2_.has_indirect_call, 0
	.section	.AMDGPU.csdata,"",@progbits
; Kernel info:
; codeLenInByte = 8812
; TotalNumSgprs: 78
; NumVgprs: 31
; ScratchSize: 0
; MemoryBound: 0
; FloatMode: 240
; IeeeMode: 1
; LDSByteSize: 0 bytes/workgroup (compile time only)
; SGPRBlocks: 9
; VGPRBlocks: 7
; NumSGPRsForWavesPerEU: 78
; NumVGPRsForWavesPerEU: 31
; Occupancy: 8
; WaveLimiterHint : 0
; COMPUTE_PGM_RSRC2:SCRATCH_EN: 0
; COMPUTE_PGM_RSRC2:USER_SGPR: 6
; COMPUTE_PGM_RSRC2:TRAP_HANDLER: 0
; COMPUTE_PGM_RSRC2:TGID_X_EN: 1
; COMPUTE_PGM_RSRC2:TGID_Y_EN: 0
; COMPUTE_PGM_RSRC2:TGID_Z_EN: 0
; COMPUTE_PGM_RSRC2:TIDIG_COMP_CNT: 0
	.section	.text._ZN9rocsolver6v33100L11lasr_kernelIddPdiEEv13rocblas_side_14rocblas_pivot_15rocblas_direct_T2_S6_PT0_lS8_lT1_lS6_lS6_,"axG",@progbits,_ZN9rocsolver6v33100L11lasr_kernelIddPdiEEv13rocblas_side_14rocblas_pivot_15rocblas_direct_T2_S6_PT0_lS8_lT1_lS6_lS6_,comdat
	.globl	_ZN9rocsolver6v33100L11lasr_kernelIddPdiEEv13rocblas_side_14rocblas_pivot_15rocblas_direct_T2_S6_PT0_lS8_lT1_lS6_lS6_ ; -- Begin function _ZN9rocsolver6v33100L11lasr_kernelIddPdiEEv13rocblas_side_14rocblas_pivot_15rocblas_direct_T2_S6_PT0_lS8_lT1_lS6_lS6_
	.p2align	8
	.type	_ZN9rocsolver6v33100L11lasr_kernelIddPdiEEv13rocblas_side_14rocblas_pivot_15rocblas_direct_T2_S6_PT0_lS8_lT1_lS6_lS6_,@function
_ZN9rocsolver6v33100L11lasr_kernelIddPdiEEv13rocblas_side_14rocblas_pivot_15rocblas_direct_T2_S6_PT0_lS8_lT1_lS6_lS6_: ; @_ZN9rocsolver6v33100L11lasr_kernelIddPdiEEv13rocblas_side_14rocblas_pivot_15rocblas_direct_T2_S6_PT0_lS8_lT1_lS6_lS6_
; %bb.0:
	s_load_dword s33, s[4:5], 0x58
	s_waitcnt lgkmcnt(0)
	s_cmp_ge_u32 s7, s33
	s_cbranch_scc1 .LBB10_108
; %bb.1:
	s_load_dword s24, s[4:5], 0x48
	s_load_dwordx2 s[26:27], s[4:5], 0x68
	s_load_dwordx4 s[20:23], s[4:5], 0x38
	s_load_dwordx4 s[16:19], s[4:5], 0x0
	s_load_dword s90, s[4:5], 0x10
	s_waitcnt lgkmcnt(0)
	s_ashr_i32 s25, s24, 31
	s_and_b32 s45, s27, 0xffff
	s_mul_i32 s6, s6, s45
	s_lshl_b64 s[2:3], s[22:23], 3
	v_add_u32_e32 v0, s6, v0
	s_add_u32 s6, s20, s2
	s_addc_u32 s27, s21, s3
	s_cmpk_eq_i32 s16, 0x8d
	s_cselect_b64 s[0:1], -1, 0
	s_cmpk_eq_i32 s16, 0x8e
	s_cselect_b64 s[8:9], -1, 0
	;; [unrolled: 2-line block ×7, first 2 shown]
	s_and_b64 s[22:23], s[0:1], s[10:11]
	s_and_b64 s[30:31], s[0:1], s[14:15]
	;; [unrolled: 1-line block ×5, first 2 shown]
	s_xor_b64 s[36:37], s[0:1], -1
	s_and_b64 s[0:1], s[8:9], s[10:11]
	s_and_b64 s[10:11], s[0:1], s[40:41]
	;; [unrolled: 1-line block ×3, first 2 shown]
	s_xor_b64 s[0:1], s[0:1], -1
                                        ; implicit-def: $vgpr45 : SGPR spill to VGPR lane
	s_xor_b64 s[38:39], s[10:11], -1
	v_writelane_b32 v45, s0, 0
	v_writelane_b32 v45, s1, 1
	s_and_b64 s[0:1], s[8:9], s[14:15]
	s_and_b64 s[10:11], s[0:1], s[40:41]
	s_xor_b64 s[10:11], s[10:11], -1
	v_writelane_b32 v45, s10, 2
	s_and_b64 s[0:1], s[0:1], s[42:43]
	v_writelane_b32 v45, s11, 3
	s_xor_b64 s[0:1], s[0:1], -1
	v_writelane_b32 v45, s0, 4
	s_and_b64 s[8:9], s[8:9], s[12:13]
	v_writelane_b32 v45, s1, 5
	s_and_b64 s[0:1], s[8:9], s[40:41]
	s_xor_b64 s[0:1], s[0:1], -1
	v_writelane_b32 v45, s0, 6
	v_writelane_b32 v45, s1, 7
	v_cmp_gt_i32_e64 s[0:1], s19, v0
	s_and_b64 s[10:11], s[42:43], s[0:1]
	s_and_b64 s[8:9], s[8:9], s[10:11]
	;; [unrolled: 1-line block ×6, first 2 shown]
	v_writelane_b32 v45, s8, 8
	s_xor_b64 s[16:17], s[16:17], -1
	s_xor_b64 s[22:23], s[22:23], -1
	;; [unrolled: 1-line block ×5, first 2 shown]
	v_writelane_b32 v45, s9, 9
	s_add_i32 s91, s90, -1
	s_add_i32 s50, s90, -2
	s_load_dwordx8 s[8:15], s[4:5], 0x18
	s_cmp_gt_i32 s90, 1
	s_cselect_b64 s[52:53], -1, 0
	s_ashr_i32 s55, s19, 31
	s_add_i32 s40, s19, -2
	s_cmp_gt_i32 s19, 1
	s_mov_b32 s51, 0
	s_cselect_b64 s[56:57], -1, 0
	s_lshl_b64 s[42:43], s[50:51], 3
	s_waitcnt lgkmcnt(0)
	s_add_u32 s18, s8, s42
	s_addc_u32 s92, s9, s43
	s_lshl_b64 s[10:11], s[10:11], 3
	s_load_dword s44, s[4:5], 0x60
	v_writelane_b32 v45, s18, 10
	s_add_u32 s93, s12, s42
	s_mul_i32 s18, s25, s50
	s_mul_hi_u32 s41, s24, s50
	s_addc_u32 s94, s13, s43
	s_add_i32 s43, s41, s18
	s_mul_i32 s42, s24, s50
	s_lshl_b64 s[42:43], s[42:43], 3
	s_lshl_b64 s[14:15], s[14:15], 3
	s_load_dwordx2 s[4:5], s[4:5], 0x50
	s_add_u32 s18, s42, s2
	s_addc_u32 s41, s43, s3
	s_add_u32 s18, s20, s18
	v_ashrrev_i32_e32 v1, 31, v0
	s_waitcnt lgkmcnt(0)
	s_mul_i32 s58, s44, s45
	s_addc_u32 s41, s21, s41
	v_lshlrev_b64 v[1:2], 3, v[0:1]
	s_ashr_i32 s59, s58, 31
	s_lshl_b64 s[60:61], s[4:5], 3
	s_lshl_b64 s[62:63], s[58:59], 3
	;; [unrolled: 1-line block ×3, first 2 shown]
	v_add_co_u32_e32 v18, vcc, s18, v1
	s_sub_u32 s59, 0, s64
	s_mul_i32 s18, s25, s91
	s_mul_hi_u32 s25, s24, s91
	s_mul_i32 s66, s24, s91
	s_subb_u32 s95, 0, s65
	s_add_i32 s43, s25, s18
	s_mov_b32 s42, s66
	s_lshl_b64 s[42:43], s[42:43], 3
	s_add_i32 s25, s90, 1
	v_mov_b32_e32 v3, s41
	s_add_u32 s18, s42, s2
	v_addc_co_u32_e32 v19, vcc, v3, v2, vcc
	s_addc_u32 s41, s43, s3
	v_mov_b32_e32 v3, s27
	v_add_co_u32_e32 v20, vcc, s6, v1
	s_add_u32 s18, s20, s18
	v_addc_co_u32_e32 v21, vcc, v3, v2, vcc
	s_addc_u32 s41, s21, s41
	v_mov_b32_e32 v3, s41
	v_add_co_u32_e32 v22, vcc, s18, v1
	s_add_u32 s18, s2, s64
	v_addc_co_u32_e32 v23, vcc, v3, v2, vcc
	s_addc_u32 s41, s3, s65
	v_mad_i64_i32 v[3:4], s[42:43], s24, v0, 0
	s_add_u32 s18, s20, s18
	s_addc_u32 s41, s21, s41
	v_mov_b32_e32 v5, s41
	v_add_co_u32_e32 v24, vcc, s18, v1
	v_addc_co_u32_e32 v25, vcc, v5, v2, vcc
	v_lshlrev_b64 v[1:2], 3, v[3:4]
	s_mov_b32 s41, s51
	v_mov_b32_e32 v3, s3
	v_add_co_u32_e32 v1, vcc, s2, v1
	s_add_i32 s50, s19, -1
	s_lshl_b64 s[2:3], s[40:41], 3
	s_add_u32 s48, s8, s2
	s_addc_u32 s49, s9, s3
	s_add_u32 s46, s12, s2
	s_addc_u32 s47, s13, s3
	s_add_u32 s2, s20, s2
	v_addc_co_u32_e32 v2, vcc, v2, v3, vcc
	s_addc_u32 s3, s21, s3
	v_mov_b32_e32 v3, s3
	v_add_co_u32_e32 v26, vcc, s2, v1
	s_mul_hi_i32 s3, s24, s58
	s_mul_i32 s2, s24, s58
	v_addc_co_u32_e32 v27, vcc, v3, v2, vcc
	s_lshl_b64 s[68:69], s[2:3], 3
	s_add_i32 s44, s19, 1
	s_lshl_b64 s[2:3], s[50:51], 3
	s_add_u32 s2, s20, s2
	v_mov_b32_e32 v3, s21
	v_add_co_u32_e32 v28, vcc, s20, v1
	s_addc_u32 s3, s21, s3
	v_addc_co_u32_e32 v29, vcc, v3, v2, vcc
	v_mov_b32_e32 v3, s3
	v_add_co_u32_e32 v30, vcc, s2, v1
	v_addc_co_u32_e32 v31, vcc, v3, v2, vcc
	v_add_co_u32_e32 v32, vcc, 8, v28
	v_addc_co_u32_e32 v33, vcc, 0, v29, vcc
	v_add_co_u32_e32 v34, vcc, 8, v26
	v_addc_co_u32_e32 v35, vcc, 0, v27, vcc
	s_mul_hi_i32 s67, s24, s91
	s_mov_b32 s54, s19
	v_mov_b32_e32 v36, 0
	v_cmp_gt_i32_e64 s[2:3], s90, v0
	s_branch .LBB10_4
.LBB10_2:                               ;   in Loop: Header=BB10_4 Depth=1
	s_or_b64 exec, exec, s[72:73]
.LBB10_3:                               ;   in Loop: Header=BB10_4 Depth=1
	s_add_i32 s7, s7, s26
	s_cmp_ge_u32 s7, s33
	s_cbranch_scc1 .LBB10_108
.LBB10_4:                               ; =>This Loop Header: Depth=1
                                        ;     Child Loop BB10_19 Depth 2
                                        ;       Child Loop BB10_20 Depth 3
                                        ;     Child Loop BB10_26 Depth 2
                                        ;       Child Loop BB10_27 Depth 3
	;; [unrolled: 2-line block ×12, first 2 shown]
	s_mul_i32 s18, s61, s7
	s_mul_hi_u32 s20, s60, s7
	s_add_i32 s43, s20, s18
	s_mul_i32 s18, s11, s7
	s_mul_hi_u32 s20, s10, s7
	s_add_i32 s40, s20, s18
	s_mul_i32 s41, s10, s7
	s_add_u32 s20, s8, s41
	s_mul_i32 s18, s15, s7
	s_mul_hi_u32 s45, s14, s7
	s_addc_u32 s21, s9, s40
	s_add_i32 s79, s45, s18
	s_mul_i32 s78, s14, s7
	s_add_u32 s70, s12, s78
	s_mul_i32 s18, s5, s7
	s_mul_hi_u32 s45, s4, s7
	s_mul_i32 s42, s60, s7
	s_addc_u32 s71, s13, s79
	s_add_i32 s73, s45, s18
	s_mul_i32 s72, s4, s7
	v_mov_b32_e32 v2, s43
	v_add_co_u32_e32 v1, vcc, s42, v32
	s_lshl_b64 s[72:73], s[72:73], 3
	v_addc_co_u32_e32 v2, vcc, v33, v2, vcc
	s_add_u32 s45, s6, s72
	s_addc_u32 s51, s27, s73
	s_and_b64 vcc, exec, s[16:17]
	s_mov_b64 s[72:73], -1
	s_cbranch_vccnz .LBB10_6
; %bb.5:                                ;   in Loop: Header=BB10_4 Depth=1
	s_andn2_b64 vcc, exec, s[72:73]
	s_cbranch_vccnz .LBB10_3
	s_branch .LBB10_103
.LBB10_6:                               ;   in Loop: Header=BB10_4 Depth=1
	s_add_u32 s72, s48, s41
	s_addc_u32 s73, s49, s40
	s_add_u32 s74, s46, s78
	s_addc_u32 s75, s47, s79
	s_mov_b64 s[76:77], -1
	s_and_b64 vcc, exec, s[22:23]
	s_cbranch_vccz .LBB10_95
; %bb.7:                                ;   in Loop: Header=BB10_4 Depth=1
	s_and_b64 vcc, exec, s[28:29]
	s_cbranch_vccz .LBB10_87
; %bb.8:                                ;   in Loop: Header=BB10_4 Depth=1
	;; [unrolled: 3-line block ×3, first 2 shown]
	s_and_b64 vcc, exec, s[34:35]
	s_cbranch_vccz .LBB10_71
; %bb.10:                               ;   in Loop: Header=BB10_4 Depth=1
	s_and_b64 vcc, exec, s[36:37]
	s_cbranch_vccz .LBB10_63
; %bb.11:                               ;   in Loop: Header=BB10_4 Depth=1
	v_mov_b32_e32 v4, s43
	v_add_co_u32_e32 v3, vcc, s42, v20
	v_addc_co_u32_e32 v4, vcc, v21, v4, vcc
	s_and_b64 vcc, exec, s[38:39]
	s_cbranch_vccz .LBB10_55
; %bb.12:                               ;   in Loop: Header=BB10_4 Depth=1
	v_mov_b32_e32 v6, s43
	v_add_co_u32_e32 v5, vcc, s42, v22
	v_readlane_b32 s18, v45, 10
	v_addc_co_u32_e32 v6, vcc, v23, v6, vcc
	s_add_u32 s76, s18, s41
	s_addc_u32 s77, s92, s40
	v_mov_b32_e32 v8, s43
	v_add_co_u32_e32 v7, vcc, s42, v18
	v_readlane_b32 s40, v45, 0
	s_add_u32 s78, s93, s78
	v_addc_co_u32_e32 v8, vcc, v19, v8, vcc
	v_readlane_b32 s41, v45, 1
	s_addc_u32 s79, s94, s79
	s_mov_b64 s[80:81], -1
	s_and_b64 vcc, exec, s[40:41]
	s_cbranch_vccz .LBB10_46
; %bb.13:                               ;   in Loop: Header=BB10_4 Depth=1
	v_readlane_b32 s40, v45, 2
	v_readlane_b32 s41, v45, 3
	s_and_b64 vcc, exec, s[40:41]
	s_cbranch_vccz .LBB10_38
; %bb.14:                               ;   in Loop: Header=BB10_4 Depth=1
	v_readlane_b32 s40, v45, 4
	v_readlane_b32 s41, v45, 5
	;; [unrolled: 5-line block ×3, first 2 shown]
	s_and_b64 vcc, exec, s[40:41]
	s_cbranch_vccz .LBB10_22
; %bb.16:                               ;   in Loop: Header=BB10_4 Depth=1
	s_mov_b64 s[80:81], exec
	v_readlane_b32 s40, v45, 8
	v_readlane_b32 s41, v45, 9
	s_and_b64 s[40:41], s[80:81], s[40:41]
	s_mov_b64 exec, s[40:41]
	s_cbranch_execz .LBB10_21
; %bb.17:                               ;   in Loop: Header=BB10_4 Depth=1
	s_lshl_b64 s[40:41], s[66:67], 3
	s_add_u32 s40, s45, s40
	v_mov_b32_e32 v10, v8
	s_addc_u32 s41, s51, s41
	s_mov_b64 s[82:83], 0
	v_mov_b32_e32 v9, v7
	v_mov_b32_e32 v11, v0
	s_branch .LBB10_19
.LBB10_18:                              ;   in Loop: Header=BB10_19 Depth=2
	v_add_u32_e32 v11, s58, v11
	v_cmp_le_i32_e32 vcc, s19, v11
	s_waitcnt vmcnt(0)
	global_store_dwordx2 v[12:13], v[14:15], off
	v_mov_b32_e32 v12, s63
	s_or_b64 s[82:83], vcc, s[82:83]
	v_add_co_u32_e32 v9, vcc, s62, v9
	v_addc_co_u32_e32 v10, vcc, v10, v12, vcc
	s_andn2_b64 exec, exec, s[82:83]
	s_cbranch_execz .LBB10_21
.LBB10_19:                              ;   Parent Loop BB10_4 Depth=1
                                        ; =>  This Loop Header: Depth=2
                                        ;       Child Loop BB10_20 Depth 3
	v_ashrrev_i32_e32 v12, 31, v11
	v_lshlrev_b64 v[12:13], 3, v[11:12]
	v_mov_b32_e32 v14, s41
	v_add_co_u32_e32 v12, vcc, s40, v12
	v_addc_co_u32_e32 v13, vcc, v14, v13, vcc
	global_load_dwordx2 v[14:15], v[12:13], off
	v_mov_b32_e32 v17, v10
	s_andn2_b64 vcc, exec, s[52:53]
	v_mov_b32_e32 v16, v9
	s_mov_b64 s[84:85], s[78:79]
	s_mov_b64 s[86:87], s[76:77]
	s_mov_b32 s18, s91
	s_cbranch_vccnz .LBB10_18
.LBB10_20:                              ;   Parent Loop BB10_4 Depth=1
                                        ;     Parent Loop BB10_19 Depth=2
                                        ; =>    This Inner Loop Header: Depth=3
	global_load_dwordx2 v[37:38], v[16:17], off
	global_load_dwordx2 v[39:40], v36, s[86:87]
	global_load_dwordx2 v[41:42], v36, s[84:85]
	s_add_i32 s18, s18, -1
	s_add_u32 s86, s86, -8
	s_addc_u32 s87, s87, -1
	s_add_u32 s84, s84, -8
	s_addc_u32 s85, s85, -1
	s_cmp_eq_u32 s18, 0
	s_waitcnt vmcnt(1)
	v_mul_f64 v[43:44], v[39:40], v[37:38]
	s_waitcnt vmcnt(0)
	v_mul_f64 v[37:38], v[41:42], v[37:38]
	v_fma_f64 v[41:42], v[14:15], v[41:42], v[43:44]
	v_fma_f64 v[14:15], v[14:15], v[39:40], -v[37:38]
	v_mov_b32_e32 v43, s95
	global_store_dwordx2 v[16:17], v[41:42], off
	v_add_co_u32_e32 v16, vcc, s59, v16
	v_addc_co_u32_e32 v17, vcc, v17, v43, vcc
	s_cbranch_scc0 .LBB10_20
	s_branch .LBB10_18
.LBB10_21:                              ;   in Loop: Header=BB10_4 Depth=1
	s_or_b64 exec, exec, s[80:81]
	s_mov_b64 s[80:81], 0
.LBB10_22:                              ;   in Loop: Header=BB10_4 Depth=1
	s_andn2_b64 vcc, exec, s[80:81]
	s_cbranch_vccnz .LBB10_29
; %bb.23:                               ;   in Loop: Header=BB10_4 Depth=1
	s_and_saveexec_b64 s[80:81], s[0:1]
	s_cbranch_execz .LBB10_28
; %bb.24:                               ;   in Loop: Header=BB10_4 Depth=1
	s_lshl_b64 s[40:41], s[66:67], 3
	s_add_u32 s40, s45, s40
	v_mov_b32_e32 v10, v4
	s_addc_u32 s41, s51, s41
	s_mov_b64 s[82:83], 0
	v_mov_b32_e32 v9, v3
	v_mov_b32_e32 v11, v0
	s_branch .LBB10_26
.LBB10_25:                              ;   in Loop: Header=BB10_26 Depth=2
	v_add_u32_e32 v11, s58, v11
	v_cmp_le_i32_e32 vcc, s19, v11
	s_waitcnt vmcnt(0)
	global_store_dwordx2 v[12:13], v[14:15], off
	v_mov_b32_e32 v12, s63
	s_or_b64 s[82:83], vcc, s[82:83]
	v_add_co_u32_e32 v9, vcc, s62, v9
	v_addc_co_u32_e32 v10, vcc, v10, v12, vcc
	s_andn2_b64 exec, exec, s[82:83]
	s_cbranch_execz .LBB10_28
.LBB10_26:                              ;   Parent Loop BB10_4 Depth=1
                                        ; =>  This Loop Header: Depth=2
                                        ;       Child Loop BB10_27 Depth 3
	v_ashrrev_i32_e32 v12, 31, v11
	v_lshlrev_b64 v[12:13], 3, v[11:12]
	v_mov_b32_e32 v14, s41
	v_add_co_u32_e32 v12, vcc, s40, v12
	v_addc_co_u32_e32 v13, vcc, v14, v13, vcc
	global_load_dwordx2 v[14:15], v[12:13], off
	v_mov_b32_e32 v17, v10
	s_andn2_b64 vcc, exec, s[52:53]
	v_mov_b32_e32 v16, v9
	s_mov_b64 s[84:85], s[70:71]
	s_mov_b64 s[86:87], s[20:21]
	s_mov_b32 s18, s91
	s_cbranch_vccnz .LBB10_25
.LBB10_27:                              ;   Parent Loop BB10_4 Depth=1
                                        ;     Parent Loop BB10_26 Depth=2
                                        ; =>    This Inner Loop Header: Depth=3
	global_load_dwordx2 v[37:38], v[16:17], off
	global_load_dwordx2 v[39:40], v36, s[86:87]
	global_load_dwordx2 v[41:42], v36, s[84:85]
	s_add_i32 s18, s18, -1
	s_add_u32 s86, s86, 8
	s_addc_u32 s87, s87, 0
	s_add_u32 s84, s84, 8
	s_addc_u32 s85, s85, 0
	s_cmp_eq_u32 s18, 0
	s_waitcnt vmcnt(1)
	v_mul_f64 v[43:44], v[39:40], v[37:38]
	s_waitcnt vmcnt(0)
	v_mul_f64 v[37:38], v[41:42], v[37:38]
	v_fma_f64 v[41:42], v[14:15], v[41:42], v[43:44]
	v_fma_f64 v[14:15], v[14:15], v[39:40], -v[37:38]
	v_mov_b32_e32 v43, s65
	global_store_dwordx2 v[16:17], v[41:42], off
	v_add_co_u32_e32 v16, vcc, s64, v16
	v_addc_co_u32_e32 v17, vcc, v17, v43, vcc
	s_cbranch_scc0 .LBB10_27
	s_branch .LBB10_25
.LBB10_28:                              ;   in Loop: Header=BB10_4 Depth=1
	s_or_b64 exec, exec, s[80:81]
.LBB10_29:                              ;   in Loop: Header=BB10_4 Depth=1
	s_mov_b64 s[80:81], 0
.LBB10_30:                              ;   in Loop: Header=BB10_4 Depth=1
	s_andn2_b64 vcc, exec, s[80:81]
	s_cbranch_vccnz .LBB10_37
; %bb.31:                               ;   in Loop: Header=BB10_4 Depth=1
	s_and_saveexec_b64 s[80:81], s[0:1]
	s_cbranch_execz .LBB10_36
; %bb.32:                               ;   in Loop: Header=BB10_4 Depth=1
	v_mov_b32_e32 v10, v6
	s_mov_b64 s[82:83], 0
	v_mov_b32_e32 v9, v5
	v_mov_b32_e32 v11, v0
	s_branch .LBB10_34
.LBB10_33:                              ;   in Loop: Header=BB10_34 Depth=2
	v_add_u32_e32 v11, s58, v11
	v_cmp_le_i32_e32 vcc, s19, v11
	s_waitcnt vmcnt(0)
	global_store_dwordx2 v[12:13], v[14:15], off
	v_mov_b32_e32 v12, s63
	s_or_b64 s[82:83], vcc, s[82:83]
	v_add_co_u32_e32 v9, vcc, s62, v9
	v_addc_co_u32_e32 v10, vcc, v10, v12, vcc
	s_andn2_b64 exec, exec, s[82:83]
	s_cbranch_execz .LBB10_36
.LBB10_34:                              ;   Parent Loop BB10_4 Depth=1
                                        ; =>  This Loop Header: Depth=2
                                        ;       Child Loop BB10_35 Depth 3
	v_ashrrev_i32_e32 v12, 31, v11
	v_lshlrev_b64 v[12:13], 3, v[11:12]
	v_mov_b32_e32 v14, s51
	v_add_co_u32_e32 v12, vcc, s45, v12
	v_addc_co_u32_e32 v13, vcc, v14, v13, vcc
	global_load_dwordx2 v[14:15], v[12:13], off
	v_mov_b32_e32 v17, v10
	s_andn2_b64 vcc, exec, s[52:53]
	v_mov_b32_e32 v16, v9
	s_mov_b64 s[84:85], s[78:79]
	s_mov_b64 s[86:87], s[76:77]
	s_mov_b32 s40, s25
	s_cbranch_vccnz .LBB10_33
.LBB10_35:                              ;   Parent Loop BB10_4 Depth=1
                                        ;     Parent Loop BB10_34 Depth=2
                                        ; =>    This Inner Loop Header: Depth=3
	global_load_dwordx2 v[37:38], v36, s[84:85]
	global_load_dwordx2 v[39:40], v[16:17], off
	global_load_dwordx2 v[41:42], v36, s[86:87]
	s_add_i32 s40, s40, -1
	s_add_u32 s86, s86, -8
	s_addc_u32 s87, s87, -1
	s_add_u32 s84, s84, -8
	s_addc_u32 s85, s85, -1
	s_cmp_lt_u32 s40, 3
	s_waitcnt vmcnt(2)
	v_mul_f64 v[43:44], v[14:15], v[37:38]
	s_waitcnt vmcnt(1)
	v_mul_f64 v[37:38], v[37:38], v[39:40]
	s_waitcnt vmcnt(0)
	v_fma_f64 v[39:40], v[41:42], v[39:40], -v[43:44]
	v_fma_f64 v[14:15], v[14:15], v[41:42], v[37:38]
	v_mov_b32_e32 v43, s95
	global_store_dwordx2 v[16:17], v[39:40], off
	v_add_co_u32_e32 v16, vcc, s59, v16
	v_addc_co_u32_e32 v17, vcc, v17, v43, vcc
	s_cbranch_scc0 .LBB10_35
	s_branch .LBB10_33
.LBB10_36:                              ;   in Loop: Header=BB10_4 Depth=1
	s_or_b64 exec, exec, s[80:81]
.LBB10_37:                              ;   in Loop: Header=BB10_4 Depth=1
	s_mov_b64 s[80:81], 0
.LBB10_38:                              ;   in Loop: Header=BB10_4 Depth=1
	s_andn2_b64 vcc, exec, s[80:81]
	s_cbranch_vccnz .LBB10_45
; %bb.39:                               ;   in Loop: Header=BB10_4 Depth=1
	s_and_saveexec_b64 s[80:81], s[0:1]
	s_cbranch_execz .LBB10_44
; %bb.40:                               ;   in Loop: Header=BB10_4 Depth=1
	v_mov_b32_e32 v10, s43
	v_add_co_u32_e32 v9, vcc, s42, v24
	v_addc_co_u32_e32 v10, vcc, v25, v10, vcc
	s_mov_b64 s[82:83], 0
	v_mov_b32_e32 v11, v0
	s_branch .LBB10_42
.LBB10_41:                              ;   in Loop: Header=BB10_42 Depth=2
	v_add_u32_e32 v11, s58, v11
	v_cmp_le_i32_e32 vcc, s19, v11
	s_waitcnt vmcnt(0)
	global_store_dwordx2 v[12:13], v[14:15], off
	v_mov_b32_e32 v12, s63
	s_or_b64 s[82:83], vcc, s[82:83]
	v_add_co_u32_e32 v9, vcc, s62, v9
	v_addc_co_u32_e32 v10, vcc, v10, v12, vcc
	s_andn2_b64 exec, exec, s[82:83]
	s_cbranch_execz .LBB10_44
.LBB10_42:                              ;   Parent Loop BB10_4 Depth=1
                                        ; =>  This Loop Header: Depth=2
                                        ;       Child Loop BB10_43 Depth 3
	v_ashrrev_i32_e32 v12, 31, v11
	v_lshlrev_b64 v[12:13], 3, v[11:12]
	v_mov_b32_e32 v14, s51
	v_add_co_u32_e32 v12, vcc, s45, v12
	v_addc_co_u32_e32 v13, vcc, v14, v13, vcc
	global_load_dwordx2 v[14:15], v[12:13], off
	v_mov_b32_e32 v17, v10
	s_andn2_b64 vcc, exec, s[52:53]
	v_mov_b32_e32 v16, v9
	s_mov_b32 s40, s91
	s_mov_b64 s[84:85], s[20:21]
	s_mov_b64 s[86:87], s[70:71]
	s_cbranch_vccnz .LBB10_41
.LBB10_43:                              ;   Parent Loop BB10_4 Depth=1
                                        ;     Parent Loop BB10_42 Depth=2
                                        ; =>    This Inner Loop Header: Depth=3
	global_load_dwordx2 v[37:38], v36, s[86:87]
	global_load_dwordx2 v[39:40], v[16:17], off
	global_load_dwordx2 v[41:42], v36, s[84:85]
	s_add_u32 s86, s86, 8
	s_addc_u32 s87, s87, 0
	s_add_u32 s84, s84, 8
	s_addc_u32 s85, s85, 0
	s_add_i32 s40, s40, -1
	s_cmp_eq_u32 s40, 0
	s_waitcnt vmcnt(2)
	v_mul_f64 v[43:44], v[14:15], v[37:38]
	s_waitcnt vmcnt(1)
	v_mul_f64 v[37:38], v[37:38], v[39:40]
	s_waitcnt vmcnt(0)
	v_fma_f64 v[39:40], v[41:42], v[39:40], -v[43:44]
	v_fma_f64 v[14:15], v[14:15], v[41:42], v[37:38]
	v_mov_b32_e32 v43, s65
	global_store_dwordx2 v[16:17], v[39:40], off
	v_add_co_u32_e32 v16, vcc, s64, v16
	v_addc_co_u32_e32 v17, vcc, v17, v43, vcc
	s_cbranch_scc0 .LBB10_43
	s_branch .LBB10_41
.LBB10_44:                              ;   in Loop: Header=BB10_4 Depth=1
	s_or_b64 exec, exec, s[80:81]
.LBB10_45:                              ;   in Loop: Header=BB10_4 Depth=1
	s_mov_b64 s[80:81], 0
.LBB10_46:                              ;   in Loop: Header=BB10_4 Depth=1
	s_andn2_b64 vcc, exec, s[80:81]
	s_cbranch_vccnz .LBB10_54
; %bb.47:                               ;   in Loop: Header=BB10_4 Depth=1
	s_and_saveexec_b64 s[80:81], s[0:1]
	s_cbranch_execz .LBB10_53
; %bb.48:                               ;   in Loop: Header=BB10_4 Depth=1
	s_lshl_b64 s[40:41], s[66:67], 3
	s_add_u32 s40, s45, s40
	s_addc_u32 s41, s51, s41
	s_mov_b64 s[82:83], 0
	v_mov_b32_e32 v9, v0
	s_branch .LBB10_50
.LBB10_49:                              ;   in Loop: Header=BB10_50 Depth=2
	v_mov_b32_e32 v14, s51
	v_add_co_u32_e32 v10, vcc, s45, v10
	v_addc_co_u32_e32 v11, vcc, v14, v11, vcc
	s_waitcnt vmcnt(0)
	global_store_dwordx2 v[10:11], v[12:13], off
	v_mov_b32_e32 v10, s63
	v_add_co_u32_e32 v5, vcc, s62, v5
	v_add_u32_e32 v9, s58, v9
	v_addc_co_u32_e32 v6, vcc, v6, v10, vcc
	v_cmp_le_i32_e32 vcc, s19, v9
	s_or_b64 s[82:83], vcc, s[82:83]
	v_add_co_u32_e32 v7, vcc, s62, v7
	v_addc_co_u32_e32 v8, vcc, v8, v10, vcc
	s_andn2_b64 exec, exec, s[82:83]
	s_cbranch_execz .LBB10_53
.LBB10_50:                              ;   Parent Loop BB10_4 Depth=1
                                        ; =>  This Loop Header: Depth=2
                                        ;       Child Loop BB10_52 Depth 3
	v_ashrrev_i32_e32 v10, 31, v9
	v_lshlrev_b64 v[10:11], 3, v[9:10]
	v_mov_b32_e32 v13, s41
	v_add_co_u32_e32 v12, vcc, s40, v10
	v_addc_co_u32_e32 v13, vcc, v13, v11, vcc
	global_load_dwordx2 v[12:13], v[12:13], off
	s_andn2_b64 vcc, exec, s[52:53]
	s_cbranch_vccnz .LBB10_49
; %bb.51:                               ;   in Loop: Header=BB10_50 Depth=2
	s_mov_b64 s[84:85], 0
	s_mov_b64 s[86:87], s[78:79]
	;; [unrolled: 1-line block ×3, first 2 shown]
	s_mov_b32 s18, s91
.LBB10_52:                              ;   Parent Loop BB10_4 Depth=1
                                        ;     Parent Loop BB10_50 Depth=2
                                        ; =>    This Inner Loop Header: Depth=3
	v_mov_b32_e32 v42, s85
	v_add_co_u32_e32 v16, vcc, s84, v7
	v_addc_co_u32_e32 v17, vcc, v8, v42, vcc
	global_load_dwordx2 v[14:15], v36, s[86:87]
	s_nop 0
	global_load_dwordx2 v[16:17], v[16:17], off
	s_nop 0
	global_load_dwordx2 v[37:38], v36, s[88:89]
	s_add_i32 s18, s18, -1
	v_add_co_u32_e32 v41, vcc, s84, v5
	s_sub_u32 s84, s84, s64
	s_subb_u32 s85, s85, s65
	s_add_u32 s88, s88, -8
	s_addc_u32 s89, s89, -1
	s_add_u32 s86, s86, -8
	s_addc_u32 s87, s87, -1
	v_addc_co_u32_e32 v42, vcc, v6, v42, vcc
	s_cmp_eq_u32 s18, 0
	s_waitcnt vmcnt(1)
	v_mul_f64 v[39:40], v[14:15], v[16:17]
	s_waitcnt vmcnt(0)
	v_mul_f64 v[16:17], v[37:38], v[16:17]
	v_fma_f64 v[37:38], v[12:13], v[37:38], -v[39:40]
	v_fma_f64 v[12:13], v[12:13], v[14:15], v[16:17]
	global_store_dwordx2 v[41:42], v[37:38], off
	s_cbranch_scc0 .LBB10_52
	s_branch .LBB10_49
.LBB10_53:                              ;   in Loop: Header=BB10_4 Depth=1
	s_or_b64 exec, exec, s[80:81]
.LBB10_54:                              ;   in Loop: Header=BB10_4 Depth=1
	s_mov_b64 s[76:77], 0
.LBB10_55:                              ;   in Loop: Header=BB10_4 Depth=1
	s_andn2_b64 vcc, exec, s[76:77]
	s_cbranch_vccnz .LBB10_62
; %bb.56:                               ;   in Loop: Header=BB10_4 Depth=1
	s_and_saveexec_b64 s[76:77], s[0:1]
	s_cbranch_execz .LBB10_61
; %bb.57:                               ;   in Loop: Header=BB10_4 Depth=1
	s_lshl_b64 s[40:41], s[66:67], 3
	s_add_u32 s40, s45, s40
	s_addc_u32 s41, s51, s41
	s_mov_b64 s[78:79], 0
	v_mov_b32_e32 v5, v0
	s_branch .LBB10_59
.LBB10_58:                              ;   in Loop: Header=BB10_59 Depth=2
	v_mov_b32_e32 v10, s41
	v_add_co_u32_e32 v6, vcc, s40, v6
	v_addc_co_u32_e32 v7, vcc, v10, v7, vcc
	v_add_u32_e32 v5, s58, v5
	v_cmp_le_i32_e32 vcc, s19, v5
	s_waitcnt vmcnt(0)
	global_store_dwordx2 v[6:7], v[8:9], off
	v_mov_b32_e32 v6, s63
	s_or_b64 s[78:79], vcc, s[78:79]
	v_add_co_u32_e32 v3, vcc, s62, v3
	v_addc_co_u32_e32 v4, vcc, v4, v6, vcc
	s_andn2_b64 exec, exec, s[78:79]
	s_cbranch_execz .LBB10_61
.LBB10_59:                              ;   Parent Loop BB10_4 Depth=1
                                        ; =>  This Loop Header: Depth=2
                                        ;       Child Loop BB10_60 Depth 3
	v_ashrrev_i32_e32 v6, 31, v5
	v_lshlrev_b64 v[6:7], 3, v[5:6]
	v_mov_b32_e32 v9, s51
	v_add_co_u32_e32 v8, vcc, s45, v6
	v_addc_co_u32_e32 v9, vcc, v9, v7, vcc
	global_load_dwordx2 v[8:9], v[8:9], off
	v_mov_b32_e32 v11, v4
	s_andn2_b64 vcc, exec, s[52:53]
	s_mov_b64 s[80:81], s[70:71]
	s_mov_b64 s[82:83], s[20:21]
	v_mov_b32_e32 v10, v3
	s_mov_b32 s18, s91
	s_cbranch_vccnz .LBB10_58
.LBB10_60:                              ;   Parent Loop BB10_4 Depth=1
                                        ;     Parent Loop BB10_59 Depth=2
                                        ; =>    This Inner Loop Header: Depth=3
	v_mov_b32_e32 v13, s65
	v_add_co_u32_e32 v12, vcc, s64, v10
	v_addc_co_u32_e32 v13, vcc, v11, v13, vcc
	global_load_dwordx2 v[14:15], v[12:13], off
	global_load_dwordx2 v[16:17], v36, s[80:81]
	global_load_dwordx2 v[37:38], v36, s[82:83]
	s_add_i32 s18, s18, -1
	s_add_u32 s82, s82, 8
	s_addc_u32 s83, s83, 0
	s_add_u32 s80, s80, 8
	s_addc_u32 s81, s81, 0
	s_cmp_eq_u32 s18, 0
	s_waitcnt vmcnt(1)
	v_mul_f64 v[39:40], v[16:17], v[14:15]
	v_mul_f64 v[16:17], v[8:9], v[16:17]
	s_waitcnt vmcnt(0)
	v_fma_f64 v[39:40], v[8:9], v[37:38], v[39:40]
	v_fma_f64 v[8:9], v[37:38], v[14:15], -v[16:17]
	global_store_dwordx2 v[10:11], v[39:40], off
	v_mov_b32_e32 v10, v12
	v_mov_b32_e32 v11, v13
	s_cbranch_scc0 .LBB10_60
	s_branch .LBB10_58
.LBB10_61:                              ;   in Loop: Header=BB10_4 Depth=1
	s_or_b64 exec, exec, s[76:77]
.LBB10_62:                              ;   in Loop: Header=BB10_4 Depth=1
	s_mov_b64 s[76:77], 0
.LBB10_63:                              ;   in Loop: Header=BB10_4 Depth=1
	s_andn2_b64 vcc, exec, s[76:77]
	s_cbranch_vccnz .LBB10_70
; %bb.64:                               ;   in Loop: Header=BB10_4 Depth=1
	s_and_saveexec_b64 s[76:77], s[2:3]
	s_cbranch_execz .LBB10_69
; %bb.65:                               ;   in Loop: Header=BB10_4 Depth=1
	s_lshl_b64 s[40:41], s[54:55], 3
	v_mov_b32_e32 v4, s43
	v_add_co_u32_e32 v3, vcc, s42, v26
	s_add_u32 s40, s45, s40
	v_addc_co_u32_e32 v4, vcc, v27, v4, vcc
	s_addc_u32 s41, s51, s41
	s_mov_b64 s[78:79], 0
	v_mov_b32_e32 v11, v0
	s_branch .LBB10_67
.LBB10_66:                              ;   in Loop: Header=BB10_67 Depth=2
	v_add_u32_e32 v11, s58, v11
	v_cmp_le_i32_e32 vcc, s90, v11
	s_waitcnt vmcnt(0)
	global_store_dwordx2 v[5:6], v[7:8], off offset:-8
	v_mov_b32_e32 v5, s69
	s_or_b64 s[78:79], vcc, s[78:79]
	v_add_co_u32_e32 v3, vcc, s68, v3
	v_addc_co_u32_e32 v4, vcc, v4, v5, vcc
	s_andn2_b64 exec, exec, s[78:79]
	s_cbranch_execz .LBB10_69
.LBB10_67:                              ;   Parent Loop BB10_4 Depth=1
                                        ; =>  This Loop Header: Depth=2
                                        ;       Child Loop BB10_68 Depth 3
	v_mad_i64_i32 v[5:6], s[80:81], v11, s24, 0
	v_mov_b32_e32 v7, s41
	v_mov_b32_e32 v10, v4
	v_lshlrev_b64 v[5:6], 3, v[5:6]
	v_mov_b32_e32 v9, v3
	v_add_co_u32_e32 v5, vcc, s40, v5
	v_addc_co_u32_e32 v6, vcc, v7, v6, vcc
	global_load_dwordx2 v[7:8], v[5:6], off offset:-8
	s_andn2_b64 vcc, exec, s[56:57]
	s_mov_b64 s[80:81], s[74:75]
	s_mov_b64 s[82:83], s[72:73]
	s_mov_b32 s18, s50
	s_cbranch_vccnz .LBB10_66
.LBB10_68:                              ;   Parent Loop BB10_4 Depth=1
                                        ;     Parent Loop BB10_67 Depth=2
                                        ; =>    This Inner Loop Header: Depth=3
	global_load_dwordx2 v[12:13], v[9:10], off
	global_load_dwordx2 v[14:15], v36, s[82:83]
	global_load_dwordx2 v[16:17], v36, s[80:81]
	s_add_i32 s18, s18, -1
	s_add_u32 s82, s82, -8
	s_addc_u32 s83, s83, -1
	s_add_u32 s80, s80, -8
	s_addc_u32 s81, s81, -1
	s_cmp_eq_u32 s18, 0
	s_waitcnt vmcnt(1)
	v_mul_f64 v[37:38], v[14:15], v[12:13]
	s_waitcnt vmcnt(0)
	v_mul_f64 v[12:13], v[16:17], v[12:13]
	v_fma_f64 v[16:17], v[7:8], v[16:17], v[37:38]
	v_fma_f64 v[7:8], v[7:8], v[14:15], -v[12:13]
	global_store_dwordx2 v[9:10], v[16:17], off
	v_add_co_u32_e32 v9, vcc, -8, v9
	v_addc_co_u32_e32 v10, vcc, -1, v10, vcc
	s_cbranch_scc0 .LBB10_68
	s_branch .LBB10_66
.LBB10_69:                              ;   in Loop: Header=BB10_4 Depth=1
	s_or_b64 exec, exec, s[76:77]
.LBB10_70:                              ;   in Loop: Header=BB10_4 Depth=1
	s_mov_b64 s[76:77], 0
.LBB10_71:                              ;   in Loop: Header=BB10_4 Depth=1
	s_andn2_b64 vcc, exec, s[76:77]
	s_cbranch_vccnz .LBB10_78
; %bb.72:                               ;   in Loop: Header=BB10_4 Depth=1
	s_and_saveexec_b64 s[76:77], s[2:3]
	s_cbranch_execz .LBB10_77
; %bb.73:                               ;   in Loop: Header=BB10_4 Depth=1
	s_lshl_b64 s[40:41], s[54:55], 3
	v_mov_b32_e32 v4, s43
	v_add_co_u32_e32 v3, vcc, s42, v28
	s_add_u32 s40, s45, s40
	v_addc_co_u32_e32 v4, vcc, v29, v4, vcc
	s_addc_u32 s41, s51, s41
	s_mov_b64 s[78:79], 0
	v_mov_b32_e32 v11, v0
	s_branch .LBB10_75
.LBB10_74:                              ;   in Loop: Header=BB10_75 Depth=2
	v_add_u32_e32 v11, s58, v11
	v_cmp_le_i32_e32 vcc, s90, v11
	s_waitcnt vmcnt(0)
	global_store_dwordx2 v[5:6], v[7:8], off offset:-8
	v_mov_b32_e32 v5, s69
	s_or_b64 s[78:79], vcc, s[78:79]
	v_add_co_u32_e32 v3, vcc, s68, v3
	v_addc_co_u32_e32 v4, vcc, v4, v5, vcc
	s_andn2_b64 exec, exec, s[78:79]
	s_cbranch_execz .LBB10_77
.LBB10_75:                              ;   Parent Loop BB10_4 Depth=1
                                        ; =>  This Loop Header: Depth=2
                                        ;       Child Loop BB10_76 Depth 3
	v_mad_i64_i32 v[5:6], s[80:81], v11, s24, 0
	v_mov_b32_e32 v7, s41
	v_mov_b32_e32 v10, v4
	v_lshlrev_b64 v[5:6], 3, v[5:6]
	v_mov_b32_e32 v9, v3
	v_add_co_u32_e32 v5, vcc, s40, v5
	v_addc_co_u32_e32 v6, vcc, v7, v6, vcc
	global_load_dwordx2 v[7:8], v[5:6], off offset:-8
	s_andn2_b64 vcc, exec, s[56:57]
	s_mov_b64 s[80:81], s[70:71]
	s_mov_b64 s[82:83], s[20:21]
	s_mov_b32 s18, s50
	s_cbranch_vccnz .LBB10_74
.LBB10_76:                              ;   Parent Loop BB10_4 Depth=1
                                        ;     Parent Loop BB10_75 Depth=2
                                        ; =>    This Inner Loop Header: Depth=3
	global_load_dwordx2 v[12:13], v[9:10], off
	global_load_dwordx2 v[14:15], v36, s[82:83]
	global_load_dwordx2 v[16:17], v36, s[80:81]
	s_add_i32 s18, s18, -1
	s_add_u32 s82, s82, 8
	s_addc_u32 s83, s83, 0
	s_add_u32 s80, s80, 8
	s_addc_u32 s81, s81, 0
	s_cmp_eq_u32 s18, 0
	s_waitcnt vmcnt(1)
	v_mul_f64 v[37:38], v[14:15], v[12:13]
	s_waitcnt vmcnt(0)
	v_mul_f64 v[12:13], v[16:17], v[12:13]
	v_fma_f64 v[16:17], v[7:8], v[16:17], v[37:38]
	v_fma_f64 v[7:8], v[7:8], v[14:15], -v[12:13]
	global_store_dwordx2 v[9:10], v[16:17], off
	v_add_co_u32_e32 v9, vcc, 8, v9
	v_addc_co_u32_e32 v10, vcc, 0, v10, vcc
	s_cbranch_scc0 .LBB10_76
	s_branch .LBB10_74
.LBB10_77:                              ;   in Loop: Header=BB10_4 Depth=1
	s_or_b64 exec, exec, s[76:77]
.LBB10_78:                              ;   in Loop: Header=BB10_4 Depth=1
	s_mov_b64 s[76:77], 0
.LBB10_79:                              ;   in Loop: Header=BB10_4 Depth=1
	s_andn2_b64 vcc, exec, s[76:77]
	s_cbranch_vccnz .LBB10_86
; %bb.80:                               ;   in Loop: Header=BB10_4 Depth=1
	s_and_saveexec_b64 s[76:77], s[2:3]
	s_cbranch_execz .LBB10_85
; %bb.81:                               ;   in Loop: Header=BB10_4 Depth=1
	v_mov_b32_e32 v4, s43
	v_add_co_u32_e32 v3, vcc, s42, v30
	v_addc_co_u32_e32 v4, vcc, v31, v4, vcc
	s_mov_b64 s[78:79], 0
	v_mov_b32_e32 v11, v0
	s_branch .LBB10_83
.LBB10_82:                              ;   in Loop: Header=BB10_83 Depth=2
	v_add_u32_e32 v11, s58, v11
	v_cmp_le_i32_e32 vcc, s90, v11
	s_waitcnt vmcnt(0)
	global_store_dwordx2 v[5:6], v[7:8], off
	v_mov_b32_e32 v5, s69
	s_or_b64 s[78:79], vcc, s[78:79]
	v_add_co_u32_e32 v3, vcc, s68, v3
	v_addc_co_u32_e32 v4, vcc, v4, v5, vcc
	s_andn2_b64 exec, exec, s[78:79]
	s_cbranch_execz .LBB10_85
.LBB10_83:                              ;   Parent Loop BB10_4 Depth=1
                                        ; =>  This Loop Header: Depth=2
                                        ;       Child Loop BB10_84 Depth 3
	v_mad_i64_i32 v[5:6], s[40:41], v11, s24, 0
	v_mov_b32_e32 v7, s51
	v_mov_b32_e32 v10, v4
	v_lshlrev_b64 v[5:6], 3, v[5:6]
	v_mov_b32_e32 v9, v3
	v_add_co_u32_e32 v5, vcc, s45, v5
	v_addc_co_u32_e32 v6, vcc, v7, v6, vcc
	global_load_dwordx2 v[7:8], v[5:6], off
	s_andn2_b64 vcc, exec, s[56:57]
	s_mov_b64 s[80:81], s[74:75]
	s_mov_b64 s[82:83], s[72:73]
	s_mov_b32 s18, s44
	s_cbranch_vccnz .LBB10_82
.LBB10_84:                              ;   Parent Loop BB10_4 Depth=1
                                        ;     Parent Loop BB10_83 Depth=2
                                        ; =>    This Inner Loop Header: Depth=3
	global_load_dwordx2 v[12:13], v36, s[80:81]
	global_load_dwordx2 v[14:15], v[9:10], off
	global_load_dwordx2 v[16:17], v36, s[82:83]
	s_add_i32 s18, s18, -1
	s_add_u32 s82, s82, -8
	s_addc_u32 s83, s83, -1
	s_add_u32 s80, s80, -8
	s_addc_u32 s81, s81, -1
	s_cmp_lt_u32 s18, 3
	s_waitcnt vmcnt(2)
	v_mul_f64 v[37:38], v[7:8], v[12:13]
	s_waitcnt vmcnt(1)
	v_mul_f64 v[12:13], v[12:13], v[14:15]
	s_waitcnt vmcnt(0)
	v_fma_f64 v[14:15], v[16:17], v[14:15], -v[37:38]
	v_fma_f64 v[7:8], v[7:8], v[16:17], v[12:13]
	global_store_dwordx2 v[9:10], v[14:15], off
	v_add_co_u32_e32 v9, vcc, -8, v9
	v_addc_co_u32_e32 v10, vcc, -1, v10, vcc
	s_cbranch_scc0 .LBB10_84
	s_branch .LBB10_82
.LBB10_85:                              ;   in Loop: Header=BB10_4 Depth=1
	s_or_b64 exec, exec, s[76:77]
.LBB10_86:                              ;   in Loop: Header=BB10_4 Depth=1
	s_mov_b64 s[76:77], 0
.LBB10_87:                              ;   in Loop: Header=BB10_4 Depth=1
	s_andn2_b64 vcc, exec, s[76:77]
	s_cbranch_vccnz .LBB10_94
; %bb.88:                               ;   in Loop: Header=BB10_4 Depth=1
	s_and_saveexec_b64 s[76:77], s[2:3]
	s_cbranch_execz .LBB10_93
; %bb.89:                               ;   in Loop: Header=BB10_4 Depth=1
	v_mov_b32_e32 v4, v2
	s_mov_b64 s[78:79], 0
	v_mov_b32_e32 v3, v1
	v_mov_b32_e32 v11, v0
	s_branch .LBB10_91
.LBB10_90:                              ;   in Loop: Header=BB10_91 Depth=2
	v_add_u32_e32 v11, s58, v11
	v_cmp_le_i32_e32 vcc, s90, v11
	s_waitcnt vmcnt(0)
	global_store_dwordx2 v[5:6], v[7:8], off
	v_mov_b32_e32 v5, s69
	s_or_b64 s[78:79], vcc, s[78:79]
	v_add_co_u32_e32 v3, vcc, s68, v3
	v_addc_co_u32_e32 v4, vcc, v4, v5, vcc
	s_andn2_b64 exec, exec, s[78:79]
	s_cbranch_execz .LBB10_93
.LBB10_91:                              ;   Parent Loop BB10_4 Depth=1
                                        ; =>  This Loop Header: Depth=2
                                        ;       Child Loop BB10_92 Depth 3
	v_mad_i64_i32 v[5:6], s[40:41], v11, s24, 0
	v_mov_b32_e32 v7, s51
	v_mov_b32_e32 v10, v4
	v_lshlrev_b64 v[5:6], 3, v[5:6]
	v_mov_b32_e32 v9, v3
	v_add_co_u32_e32 v5, vcc, s45, v5
	v_addc_co_u32_e32 v6, vcc, v7, v6, vcc
	global_load_dwordx2 v[7:8], v[5:6], off
	s_andn2_b64 vcc, exec, s[56:57]
	s_mov_b32 s18, s50
	s_mov_b64 s[80:81], s[20:21]
	s_mov_b64 s[82:83], s[70:71]
	s_cbranch_vccnz .LBB10_90
.LBB10_92:                              ;   Parent Loop BB10_4 Depth=1
                                        ;     Parent Loop BB10_91 Depth=2
                                        ; =>    This Inner Loop Header: Depth=3
	global_load_dwordx2 v[12:13], v36, s[82:83]
	global_load_dwordx2 v[14:15], v[9:10], off
	global_load_dwordx2 v[16:17], v36, s[80:81]
	s_add_u32 s82, s82, 8
	s_addc_u32 s83, s83, 0
	s_add_u32 s80, s80, 8
	s_addc_u32 s81, s81, 0
	s_add_i32 s18, s18, -1
	s_cmp_eq_u32 s18, 0
	s_waitcnt vmcnt(2)
	v_mul_f64 v[37:38], v[7:8], v[12:13]
	s_waitcnt vmcnt(1)
	v_mul_f64 v[12:13], v[12:13], v[14:15]
	s_waitcnt vmcnt(0)
	v_fma_f64 v[14:15], v[16:17], v[14:15], -v[37:38]
	v_fma_f64 v[7:8], v[7:8], v[16:17], v[12:13]
	global_store_dwordx2 v[9:10], v[14:15], off
	v_add_co_u32_e32 v9, vcc, 8, v9
	v_addc_co_u32_e32 v10, vcc, 0, v10, vcc
	s_cbranch_scc0 .LBB10_92
	s_branch .LBB10_90
.LBB10_93:                              ;   in Loop: Header=BB10_4 Depth=1
	s_or_b64 exec, exec, s[76:77]
.LBB10_94:                              ;   in Loop: Header=BB10_4 Depth=1
	s_mov_b64 s[76:77], 0
.LBB10_95:                              ;   in Loop: Header=BB10_4 Depth=1
	s_andn2_b64 vcc, exec, s[76:77]
	s_cbranch_vccnz .LBB10_102
; %bb.96:                               ;   in Loop: Header=BB10_4 Depth=1
	s_and_saveexec_b64 s[76:77], s[2:3]
	s_cbranch_execz .LBB10_101
; %bb.97:                               ;   in Loop: Header=BB10_4 Depth=1
	s_lshl_b64 s[40:41], s[54:55], 3
	v_mov_b32_e32 v4, s43
	v_add_co_u32_e32 v3, vcc, s42, v34
	s_add_u32 s40, s45, s40
	v_addc_co_u32_e32 v4, vcc, v35, v4, vcc
	s_addc_u32 s41, s51, s41
	s_mov_b64 s[78:79], 0
	v_mov_b32_e32 v11, v0
	s_branch .LBB10_99
.LBB10_98:                              ;   in Loop: Header=BB10_99 Depth=2
	v_mov_b32_e32 v9, s51
	v_add_co_u32_e32 v5, vcc, s45, v5
	v_addc_co_u32_e32 v6, vcc, v9, v6, vcc
	v_add_u32_e32 v11, s58, v11
	v_cmp_le_i32_e32 vcc, s90, v11
	s_waitcnt vmcnt(0)
	global_store_dwordx2 v[5:6], v[7:8], off
	v_mov_b32_e32 v5, s69
	s_or_b64 s[78:79], vcc, s[78:79]
	v_add_co_u32_e32 v3, vcc, s68, v3
	v_addc_co_u32_e32 v4, vcc, v4, v5, vcc
	s_andn2_b64 exec, exec, s[78:79]
	s_cbranch_execz .LBB10_101
.LBB10_99:                              ;   Parent Loop BB10_4 Depth=1
                                        ; =>  This Loop Header: Depth=2
                                        ;       Child Loop BB10_100 Depth 3
	v_mad_i64_i32 v[5:6], s[42:43], v11, s24, 0
	v_mov_b32_e32 v8, s41
	v_mov_b32_e32 v10, v4
	v_lshlrev_b64 v[5:6], 3, v[5:6]
	v_mov_b32_e32 v9, v3
	v_add_co_u32_e32 v7, vcc, s40, v5
	v_addc_co_u32_e32 v8, vcc, v8, v6, vcc
	global_load_dwordx2 v[7:8], v[7:8], off offset:-8
	s_andn2_b64 vcc, exec, s[56:57]
	s_mov_b64 s[80:81], s[74:75]
	s_mov_b64 s[82:83], s[72:73]
	s_mov_b32 s18, s50
	s_cbranch_vccnz .LBB10_98
.LBB10_100:                             ;   Parent Loop BB10_4 Depth=1
                                        ;     Parent Loop BB10_99 Depth=2
                                        ; =>    This Inner Loop Header: Depth=3
	global_load_dwordx2 v[12:13], v[9:10], off offset:-8
	global_load_dwordx2 v[14:15], v36, s[80:81]
	global_load_dwordx2 v[16:17], v36, s[82:83]
	s_add_i32 s18, s18, -1
	s_add_u32 s82, s82, -8
	s_addc_u32 s83, s83, -1
	v_add_co_u32_e32 v39, vcc, -8, v9
	s_add_u32 s80, s80, -8
	v_addc_co_u32_e32 v40, vcc, -1, v10, vcc
	s_addc_u32 s81, s81, -1
	s_cmp_eq_u32 s18, 0
	s_waitcnt vmcnt(1)
	v_mul_f64 v[37:38], v[14:15], v[12:13]
	s_waitcnt vmcnt(0)
	v_mul_f64 v[12:13], v[16:17], v[12:13]
	v_fma_f64 v[16:17], v[7:8], v[16:17], -v[37:38]
	v_fma_f64 v[7:8], v[7:8], v[14:15], v[12:13]
	global_store_dwordx2 v[9:10], v[16:17], off
	v_mov_b32_e32 v9, v39
	v_mov_b32_e32 v10, v40
	s_cbranch_scc0 .LBB10_100
	s_branch .LBB10_98
.LBB10_101:                             ;   in Loop: Header=BB10_4 Depth=1
	s_or_b64 exec, exec, s[76:77]
.LBB10_102:                             ;   in Loop: Header=BB10_4 Depth=1
	s_cbranch_execnz .LBB10_3
.LBB10_103:                             ;   in Loop: Header=BB10_4 Depth=1
	s_and_saveexec_b64 s[72:73], s[2:3]
	s_cbranch_execz .LBB10_2
; %bb.104:                              ;   in Loop: Header=BB10_4 Depth=1
	s_lshl_b64 s[40:41], s[54:55], 3
	s_add_u32 s40, s45, s40
	s_addc_u32 s41, s51, s41
	s_mov_b64 s[74:75], 0
	v_mov_b32_e32 v9, v0
	s_branch .LBB10_106
.LBB10_105:                             ;   in Loop: Header=BB10_106 Depth=2
	v_mov_b32_e32 v7, s41
	v_add_co_u32_e32 v3, vcc, s40, v3
	v_addc_co_u32_e32 v4, vcc, v7, v4, vcc
	v_add_u32_e32 v9, s58, v9
	v_cmp_le_i32_e32 vcc, s90, v9
	s_waitcnt vmcnt(0)
	global_store_dwordx2 v[3:4], v[5:6], off offset:-8
	v_mov_b32_e32 v3, s69
	s_or_b64 s[74:75], vcc, s[74:75]
	v_add_co_u32_e32 v1, vcc, s68, v1
	v_addc_co_u32_e32 v2, vcc, v2, v3, vcc
	s_andn2_b64 exec, exec, s[74:75]
	s_cbranch_execz .LBB10_2
.LBB10_106:                             ;   Parent Loop BB10_4 Depth=1
                                        ; =>  This Loop Header: Depth=2
                                        ;       Child Loop BB10_107 Depth 3
	v_mad_i64_i32 v[3:4], s[42:43], v9, s24, 0
	v_mov_b32_e32 v6, s51
	v_mov_b32_e32 v8, v2
	v_lshlrev_b64 v[3:4], 3, v[3:4]
	s_mov_b64 s[76:77], s[70:71]
	v_add_co_u32_e32 v5, vcc, s45, v3
	v_addc_co_u32_e32 v6, vcc, v6, v4, vcc
	global_load_dwordx2 v[5:6], v[5:6], off
	s_andn2_b64 vcc, exec, s[56:57]
	s_mov_b64 s[78:79], s[20:21]
	v_mov_b32_e32 v7, v1
	s_mov_b32 s18, s50
	s_cbranch_vccnz .LBB10_105
.LBB10_107:                             ;   Parent Loop BB10_4 Depth=1
                                        ;     Parent Loop BB10_106 Depth=2
                                        ; =>    This Inner Loop Header: Depth=3
	global_load_dwordx2 v[10:11], v[7:8], off
	global_load_dwordx2 v[12:13], v36, s[76:77]
	global_load_dwordx2 v[14:15], v36, s[78:79]
	s_add_i32 s18, s18, -1
	s_add_u32 s78, s78, 8
	s_addc_u32 s79, s79, 0
	s_add_u32 s76, s76, 8
	s_addc_u32 s77, s77, 0
	s_cmp_eq_u32 s18, 0
	s_waitcnt vmcnt(1)
	v_mul_f64 v[16:17], v[12:13], v[10:11]
	v_mul_f64 v[12:13], v[5:6], v[12:13]
	s_waitcnt vmcnt(0)
	v_fma_f64 v[16:17], v[5:6], v[14:15], v[16:17]
	v_fma_f64 v[5:6], v[14:15], v[10:11], -v[12:13]
	global_store_dwordx2 v[7:8], v[16:17], off offset:-8
	v_add_co_u32_e32 v7, vcc, 8, v7
	v_addc_co_u32_e32 v8, vcc, 0, v8, vcc
	s_cbranch_scc0 .LBB10_107
	s_branch .LBB10_105
.LBB10_108:
	s_endpgm
	.section	.rodata,"a",@progbits
	.p2align	6, 0x0
	.amdhsa_kernel _ZN9rocsolver6v33100L11lasr_kernelIddPdiEEv13rocblas_side_14rocblas_pivot_15rocblas_direct_T2_S6_PT0_lS8_lT1_lS6_lS6_
		.amdhsa_group_segment_fixed_size 0
		.amdhsa_private_segment_fixed_size 0
		.amdhsa_kernarg_size 352
		.amdhsa_user_sgpr_count 6
		.amdhsa_user_sgpr_private_segment_buffer 1
		.amdhsa_user_sgpr_dispatch_ptr 0
		.amdhsa_user_sgpr_queue_ptr 0
		.amdhsa_user_sgpr_kernarg_segment_ptr 1
		.amdhsa_user_sgpr_dispatch_id 0
		.amdhsa_user_sgpr_flat_scratch_init 0
		.amdhsa_user_sgpr_private_segment_size 0
		.amdhsa_uses_dynamic_stack 0
		.amdhsa_system_sgpr_private_segment_wavefront_offset 0
		.amdhsa_system_sgpr_workgroup_id_x 1
		.amdhsa_system_sgpr_workgroup_id_y 0
		.amdhsa_system_sgpr_workgroup_id_z 1
		.amdhsa_system_sgpr_workgroup_info 0
		.amdhsa_system_vgpr_workitem_id 0
		.amdhsa_next_free_vgpr 46
		.amdhsa_next_free_sgpr 96
		.amdhsa_reserve_vcc 1
		.amdhsa_reserve_flat_scratch 0
		.amdhsa_float_round_mode_32 0
		.amdhsa_float_round_mode_16_64 0
		.amdhsa_float_denorm_mode_32 3
		.amdhsa_float_denorm_mode_16_64 3
		.amdhsa_dx10_clamp 1
		.amdhsa_ieee_mode 1
		.amdhsa_fp16_overflow 0
		.amdhsa_exception_fp_ieee_invalid_op 0
		.amdhsa_exception_fp_denorm_src 0
		.amdhsa_exception_fp_ieee_div_zero 0
		.amdhsa_exception_fp_ieee_overflow 0
		.amdhsa_exception_fp_ieee_underflow 0
		.amdhsa_exception_fp_ieee_inexact 0
		.amdhsa_exception_int_div_zero 0
	.end_amdhsa_kernel
	.section	.text._ZN9rocsolver6v33100L11lasr_kernelIddPdiEEv13rocblas_side_14rocblas_pivot_15rocblas_direct_T2_S6_PT0_lS8_lT1_lS6_lS6_,"axG",@progbits,_ZN9rocsolver6v33100L11lasr_kernelIddPdiEEv13rocblas_side_14rocblas_pivot_15rocblas_direct_T2_S6_PT0_lS8_lT1_lS6_lS6_,comdat
.Lfunc_end10:
	.size	_ZN9rocsolver6v33100L11lasr_kernelIddPdiEEv13rocblas_side_14rocblas_pivot_15rocblas_direct_T2_S6_PT0_lS8_lT1_lS6_lS6_, .Lfunc_end10-_ZN9rocsolver6v33100L11lasr_kernelIddPdiEEv13rocblas_side_14rocblas_pivot_15rocblas_direct_T2_S6_PT0_lS8_lT1_lS6_lS6_
                                        ; -- End function
	.set _ZN9rocsolver6v33100L11lasr_kernelIddPdiEEv13rocblas_side_14rocblas_pivot_15rocblas_direct_T2_S6_PT0_lS8_lT1_lS6_lS6_.num_vgpr, 46
	.set _ZN9rocsolver6v33100L11lasr_kernelIddPdiEEv13rocblas_side_14rocblas_pivot_15rocblas_direct_T2_S6_PT0_lS8_lT1_lS6_lS6_.num_agpr, 0
	.set _ZN9rocsolver6v33100L11lasr_kernelIddPdiEEv13rocblas_side_14rocblas_pivot_15rocblas_direct_T2_S6_PT0_lS8_lT1_lS6_lS6_.numbered_sgpr, 96
	.set _ZN9rocsolver6v33100L11lasr_kernelIddPdiEEv13rocblas_side_14rocblas_pivot_15rocblas_direct_T2_S6_PT0_lS8_lT1_lS6_lS6_.num_named_barrier, 0
	.set _ZN9rocsolver6v33100L11lasr_kernelIddPdiEEv13rocblas_side_14rocblas_pivot_15rocblas_direct_T2_S6_PT0_lS8_lT1_lS6_lS6_.private_seg_size, 0
	.set _ZN9rocsolver6v33100L11lasr_kernelIddPdiEEv13rocblas_side_14rocblas_pivot_15rocblas_direct_T2_S6_PT0_lS8_lT1_lS6_lS6_.uses_vcc, 1
	.set _ZN9rocsolver6v33100L11lasr_kernelIddPdiEEv13rocblas_side_14rocblas_pivot_15rocblas_direct_T2_S6_PT0_lS8_lT1_lS6_lS6_.uses_flat_scratch, 0
	.set _ZN9rocsolver6v33100L11lasr_kernelIddPdiEEv13rocblas_side_14rocblas_pivot_15rocblas_direct_T2_S6_PT0_lS8_lT1_lS6_lS6_.has_dyn_sized_stack, 0
	.set _ZN9rocsolver6v33100L11lasr_kernelIddPdiEEv13rocblas_side_14rocblas_pivot_15rocblas_direct_T2_S6_PT0_lS8_lT1_lS6_lS6_.has_recursion, 0
	.set _ZN9rocsolver6v33100L11lasr_kernelIddPdiEEv13rocblas_side_14rocblas_pivot_15rocblas_direct_T2_S6_PT0_lS8_lT1_lS6_lS6_.has_indirect_call, 0
	.section	.AMDGPU.csdata,"",@progbits
; Kernel info:
; codeLenInByte = 4560
; TotalNumSgprs: 100
; NumVgprs: 46
; ScratchSize: 0
; MemoryBound: 0
; FloatMode: 240
; IeeeMode: 1
; LDSByteSize: 0 bytes/workgroup (compile time only)
; SGPRBlocks: 12
; VGPRBlocks: 11
; NumSGPRsForWavesPerEU: 100
; NumVGPRsForWavesPerEU: 46
; Occupancy: 5
; WaveLimiterHint : 0
; COMPUTE_PGM_RSRC2:SCRATCH_EN: 0
; COMPUTE_PGM_RSRC2:USER_SGPR: 6
; COMPUTE_PGM_RSRC2:TRAP_HANDLER: 0
; COMPUTE_PGM_RSRC2:TGID_X_EN: 1
; COMPUTE_PGM_RSRC2:TGID_Y_EN: 0
; COMPUTE_PGM_RSRC2:TGID_Z_EN: 1
; COMPUTE_PGM_RSRC2:TIDIG_COMP_CNT: 0
	.section	.text._ZN9rocsolver6v33100L11swap_kernelIdiEEvT0_PT_S2_S4_S2_,"axG",@progbits,_ZN9rocsolver6v33100L11swap_kernelIdiEEvT0_PT_S2_S4_S2_,comdat
	.globl	_ZN9rocsolver6v33100L11swap_kernelIdiEEvT0_PT_S2_S4_S2_ ; -- Begin function _ZN9rocsolver6v33100L11swap_kernelIdiEEvT0_PT_S2_S4_S2_
	.p2align	8
	.type	_ZN9rocsolver6v33100L11swap_kernelIdiEEvT0_PT_S2_S4_S2_,@function
_ZN9rocsolver6v33100L11swap_kernelIdiEEvT0_PT_S2_S4_S2_: ; @_ZN9rocsolver6v33100L11swap_kernelIdiEEvT0_PT_S2_S4_S2_
; %bb.0:
	s_load_dword s16, s[4:5], 0x0
	s_waitcnt lgkmcnt(0)
	s_cmp_lt_i32 s16, 1
	s_cbranch_scc1 .LBB11_10
; %bb.1:
	s_load_dword s0, s[4:5], 0x28
	s_load_dword s1, s[4:5], 0x34
	s_load_dwordx2 s[2:3], s[4:5], 0x8
	s_load_dword s12, s[4:5], 0x10
	s_load_dwordx2 s[8:9], s[4:5], 0x18
	s_load_dword s10, s[4:5], 0x20
	s_waitcnt lgkmcnt(0)
	s_and_b32 s1, s1, 0xffff
	s_mul_i32 s6, s6, s1
	s_cmp_eq_u32 s12, 1
	s_mul_i32 s4, s0, s1
	s_cselect_b64 s[0:1], -1, 0
	s_cmp_eq_u32 s10, 1
	v_add_u32_e32 v0, s6, v0
	s_cselect_b64 s[6:7], -1, 0
	s_and_b64 s[14:15], s[0:1], s[6:7]
	v_cmp_gt_i32_e64 s[0:1], s16, v0
	s_mov_b64 s[6:7], -1
	s_and_b64 vcc, exec, s[14:15]
	s_cbranch_vccnz .LBB11_6
; %bb.2:
	s_and_saveexec_b64 s[6:7], s[0:1]
	s_cbranch_execz .LBB11_5
; %bb.3:
	v_mad_i64_i32 v[1:2], s[14:15], s10, v0, 0
	v_mov_b32_e32 v3, s9
	s_mul_hi_i32 s11, s10, s4
	v_lshlrev_b64 v[1:2], 3, v[1:2]
	s_mul_i32 s10, s10, s4
	v_add_co_u32_e32 v1, vcc, s8, v1
	v_addc_co_u32_e32 v2, vcc, v3, v2, vcc
	v_mad_i64_i32 v[3:4], s[14:15], s12, v0, 0
	s_mul_hi_i32 s13, s12, s4
	s_mul_i32 s12, s12, s4
	v_lshlrev_b64 v[3:4], 3, v[3:4]
	s_lshl_b64 s[10:11], s[10:11], 3
	v_mov_b32_e32 v5, s3
	v_add_co_u32_e32 v3, vcc, s2, v3
	s_lshl_b64 s[12:13], s[12:13], 3
	v_addc_co_u32_e32 v4, vcc, v5, v4, vcc
	s_mov_b64 s[14:15], 0
	v_mov_b32_e32 v5, s11
	v_mov_b32_e32 v6, s13
	;; [unrolled: 1-line block ×3, first 2 shown]
.LBB11_4:                               ; =>This Inner Loop Header: Depth=1
	global_load_dwordx2 v[8:9], v[3:4], off
	global_load_dwordx2 v[10:11], v[1:2], off
	v_add_u32_e32 v7, s4, v7
	v_cmp_le_i32_e32 vcc, s16, v7
	s_or_b64 s[14:15], vcc, s[14:15]
	s_waitcnt vmcnt(1)
	global_store_dwordx2 v[1:2], v[8:9], off
	s_waitcnt vmcnt(1)
	global_store_dwordx2 v[3:4], v[10:11], off
	v_add_co_u32_e32 v1, vcc, s10, v1
	v_addc_co_u32_e32 v2, vcc, v2, v5, vcc
	v_add_co_u32_e32 v3, vcc, s12, v3
	v_addc_co_u32_e32 v4, vcc, v4, v6, vcc
	s_andn2_b64 exec, exec, s[14:15]
	s_cbranch_execnz .LBB11_4
.LBB11_5:
	s_or_b64 exec, exec, s[6:7]
	s_mov_b64 s[6:7], 0
.LBB11_6:
	s_andn2_b64 vcc, exec, s[6:7]
	s_cbranch_vccnz .LBB11_10
; %bb.7:
	s_and_saveexec_b64 s[6:7], s[0:1]
	s_cbranch_execz .LBB11_10
; %bb.8:
	v_ashrrev_i32_e32 v1, 31, v0
	s_ashr_i32 s5, s4, 31
	v_lshlrev_b64 v[1:2], 3, v[0:1]
	s_lshl_b64 s[0:1], s[4:5], 3
	s_mov_b64 s[6:7], 0
	v_mov_b32_e32 v3, s9
	v_mov_b32_e32 v4, s3
	;; [unrolled: 1-line block ×3, first 2 shown]
.LBB11_9:                               ; =>This Inner Loop Header: Depth=1
	v_add_co_u32_e32 v6, vcc, s8, v1
	v_addc_co_u32_e32 v7, vcc, v3, v2, vcc
	v_add_co_u32_e32 v8, vcc, s2, v1
	v_addc_co_u32_e32 v9, vcc, v4, v2, vcc
	global_load_dwordx2 v[10:11], v[8:9], off
	global_load_dwordx2 v[12:13], v[6:7], off
	v_add_co_u32_e32 v1, vcc, s0, v1
	v_add_u32_e32 v0, s4, v0
	v_addc_co_u32_e32 v2, vcc, v2, v5, vcc
	v_cmp_le_i32_e32 vcc, s16, v0
	s_or_b64 s[6:7], vcc, s[6:7]
	s_waitcnt vmcnt(1)
	global_store_dwordx2 v[6:7], v[10:11], off
	s_waitcnt vmcnt(1)
	global_store_dwordx2 v[8:9], v[12:13], off
	s_andn2_b64 exec, exec, s[6:7]
	s_cbranch_execnz .LBB11_9
.LBB11_10:
	s_endpgm
	.section	.rodata,"a",@progbits
	.p2align	6, 0x0
	.amdhsa_kernel _ZN9rocsolver6v33100L11swap_kernelIdiEEvT0_PT_S2_S4_S2_
		.amdhsa_group_segment_fixed_size 0
		.amdhsa_private_segment_fixed_size 0
		.amdhsa_kernarg_size 296
		.amdhsa_user_sgpr_count 6
		.amdhsa_user_sgpr_private_segment_buffer 1
		.amdhsa_user_sgpr_dispatch_ptr 0
		.amdhsa_user_sgpr_queue_ptr 0
		.amdhsa_user_sgpr_kernarg_segment_ptr 1
		.amdhsa_user_sgpr_dispatch_id 0
		.amdhsa_user_sgpr_flat_scratch_init 0
		.amdhsa_user_sgpr_private_segment_size 0
		.amdhsa_uses_dynamic_stack 0
		.amdhsa_system_sgpr_private_segment_wavefront_offset 0
		.amdhsa_system_sgpr_workgroup_id_x 1
		.amdhsa_system_sgpr_workgroup_id_y 0
		.amdhsa_system_sgpr_workgroup_id_z 0
		.amdhsa_system_sgpr_workgroup_info 0
		.amdhsa_system_vgpr_workitem_id 0
		.amdhsa_next_free_vgpr 14
		.amdhsa_next_free_sgpr 17
		.amdhsa_reserve_vcc 1
		.amdhsa_reserve_flat_scratch 0
		.amdhsa_float_round_mode_32 0
		.amdhsa_float_round_mode_16_64 0
		.amdhsa_float_denorm_mode_32 3
		.amdhsa_float_denorm_mode_16_64 3
		.amdhsa_dx10_clamp 1
		.amdhsa_ieee_mode 1
		.amdhsa_fp16_overflow 0
		.amdhsa_exception_fp_ieee_invalid_op 0
		.amdhsa_exception_fp_denorm_src 0
		.amdhsa_exception_fp_ieee_div_zero 0
		.amdhsa_exception_fp_ieee_overflow 0
		.amdhsa_exception_fp_ieee_underflow 0
		.amdhsa_exception_fp_ieee_inexact 0
		.amdhsa_exception_int_div_zero 0
	.end_amdhsa_kernel
	.section	.text._ZN9rocsolver6v33100L11swap_kernelIdiEEvT0_PT_S2_S4_S2_,"axG",@progbits,_ZN9rocsolver6v33100L11swap_kernelIdiEEvT0_PT_S2_S4_S2_,comdat
.Lfunc_end11:
	.size	_ZN9rocsolver6v33100L11swap_kernelIdiEEvT0_PT_S2_S4_S2_, .Lfunc_end11-_ZN9rocsolver6v33100L11swap_kernelIdiEEvT0_PT_S2_S4_S2_
                                        ; -- End function
	.set _ZN9rocsolver6v33100L11swap_kernelIdiEEvT0_PT_S2_S4_S2_.num_vgpr, 14
	.set _ZN9rocsolver6v33100L11swap_kernelIdiEEvT0_PT_S2_S4_S2_.num_agpr, 0
	.set _ZN9rocsolver6v33100L11swap_kernelIdiEEvT0_PT_S2_S4_S2_.numbered_sgpr, 17
	.set _ZN9rocsolver6v33100L11swap_kernelIdiEEvT0_PT_S2_S4_S2_.num_named_barrier, 0
	.set _ZN9rocsolver6v33100L11swap_kernelIdiEEvT0_PT_S2_S4_S2_.private_seg_size, 0
	.set _ZN9rocsolver6v33100L11swap_kernelIdiEEvT0_PT_S2_S4_S2_.uses_vcc, 1
	.set _ZN9rocsolver6v33100L11swap_kernelIdiEEvT0_PT_S2_S4_S2_.uses_flat_scratch, 0
	.set _ZN9rocsolver6v33100L11swap_kernelIdiEEvT0_PT_S2_S4_S2_.has_dyn_sized_stack, 0
	.set _ZN9rocsolver6v33100L11swap_kernelIdiEEvT0_PT_S2_S4_S2_.has_recursion, 0
	.set _ZN9rocsolver6v33100L11swap_kernelIdiEEvT0_PT_S2_S4_S2_.has_indirect_call, 0
	.section	.AMDGPU.csdata,"",@progbits
; Kernel info:
; codeLenInByte = 460
; TotalNumSgprs: 21
; NumVgprs: 14
; ScratchSize: 0
; MemoryBound: 0
; FloatMode: 240
; IeeeMode: 1
; LDSByteSize: 0 bytes/workgroup (compile time only)
; SGPRBlocks: 2
; VGPRBlocks: 3
; NumSGPRsForWavesPerEU: 21
; NumVGPRsForWavesPerEU: 14
; Occupancy: 10
; WaveLimiterHint : 0
; COMPUTE_PGM_RSRC2:SCRATCH_EN: 0
; COMPUTE_PGM_RSRC2:USER_SGPR: 6
; COMPUTE_PGM_RSRC2:TRAP_HANDLER: 0
; COMPUTE_PGM_RSRC2:TGID_X_EN: 1
; COMPUTE_PGM_RSRC2:TGID_Y_EN: 0
; COMPUTE_PGM_RSRC2:TGID_Z_EN: 0
; COMPUTE_PGM_RSRC2:TIDIG_COMP_CNT: 0
	.section	.text._ZN9rocsolver6v33100L12steqr_kernelIddPdEEviPT0_lS4_lT1_iilPiS4_iS3_S3_S3_,"axG",@progbits,_ZN9rocsolver6v33100L12steqr_kernelIddPdEEviPT0_lS4_lT1_iilPiS4_iS3_S3_S3_,comdat
	.globl	_ZN9rocsolver6v33100L12steqr_kernelIddPdEEviPT0_lS4_lT1_iilPiS4_iS3_S3_S3_ ; -- Begin function _ZN9rocsolver6v33100L12steqr_kernelIddPdEEviPT0_lS4_lT1_iilPiS4_iS3_S3_S3_
	.p2align	8
	.type	_ZN9rocsolver6v33100L12steqr_kernelIddPdEEviPT0_lS4_lT1_iilPiS4_iS3_S3_S3_,@function
_ZN9rocsolver6v33100L12steqr_kernelIddPdEEviPT0_lS4_lT1_iilPiS4_iS3_S3_S3_: ; @_ZN9rocsolver6v33100L12steqr_kernelIddPdEEviPT0_lS4_lT1_iilPiS4_iS3_S3_S3_
; %bb.0:
	s_mov_b64 s[98:99], s[2:3]
	s_mov_b64 s[96:97], s[0:1]
	s_mov_b32 s36, s7
	s_load_dword s0, s[4:5], 0x7c
	s_load_dword s7, s[4:5], 0x70
	s_add_u32 s96, s96, s8
	s_addc_u32 s97, s97, 0
	s_waitcnt lgkmcnt(0)
	s_and_b32 s26, s0, 0xffff
	s_mul_i32 s6, s6, s26
	v_add_u32_e32 v4, s6, v0
	v_cmp_eq_u32_e64 s[0:1], 0, v4
	s_and_saveexec_b64 s[2:3], s[0:1]
; %bb.1:
	v_mov_b32_e32 v0, 0
	ds_write2_b32 v0, v0, v0 offset0:6 offset1:9
; %bb.2:
	s_or_b64 exec, exec, s[2:3]
	s_load_dword s28, s[4:5], 0x0
	s_load_dwordx8 s[16:23], s[4:5], 0x8
	s_load_dwordx8 s[8:15], s[4:5], 0x28
	s_load_dwordx2 s[24:25], s[4:5], 0x48
	s_load_dword s33, s[4:5], 0x50
	s_ashr_i32 s37, s36, 31
	s_waitcnt lgkmcnt(0)
	s_mul_hi_u32 s2, s18, s36
	s_mul_i32 s3, s18, s37
	s_add_i32 s2, s2, s3
	s_mul_i32 s3, s19, s36
	s_add_i32 s3, s2, s3
	s_mul_i32 s2, s18, s36
	s_lshl_b64 s[34:35], s[2:3], 3
	s_add_u32 s18, s16, s34
	s_mul_hi_u32 s2, s22, s36
	s_mul_i32 s3, s22, s37
	v_mov_b32_e32 v6, 0
	s_addc_u32 s19, s17, s35
	s_add_i32 s2, s2, s3
	s_mul_i32 s3, s23, s36
	s_barrier
	ds_read2_b32 v[0:1], v6 offset0:6 offset1:9
	s_add_i32 s41, s2, s3
	s_ashr_i32 s3, s10, 31
	s_mov_b32 s2, s10
                                        ; implicit-def: $vgpr62 : SGPR spill to VGPR lane
	s_mul_i32 s30, s7, s26
	v_writelane_b32 v62, s2, 0
	v_writelane_b32 v62, s3, 1
	s_mul_hi_u32 s2, s12, s36
	s_mul_i32 s3, s12, s37
	s_add_i32 s2, s2, s3
	s_mul_i32 s3, s13, s36
	s_add_i32 s13, s2, s3
	s_waitcnt lgkmcnt(0)
	v_cmp_gt_i32_e32 vcc, s28, v0
	v_cmp_gt_i32_e64 s[2:3], s33, v1
	s_and_b64 s[2:3], vcc, s[2:3]
	s_mul_i32 s40, s22, s36
	s_mul_i32 s12, s12, s36
	v_readfirstlane_b32 s6, v0
	s_andn2_b64 vcc, exec, s[2:3]
	s_add_i32 s38, s28, -1
	s_cbranch_vccnz .LBB12_223
; %bb.3:
	s_lshl_b32 s7, s28, 1
	s_lshl_b64 s[2:3], s[40:41], 3
	s_add_u32 s10, s20, s2
	s_addc_u32 s88, s21, s3
	s_lshl_b64 s[2:3], s[12:13], 3
	v_readlane_b32 s26, v62, 0
	s_add_u32 s22, s8, s2
	v_readlane_b32 s27, v62, 1
	s_addc_u32 s23, s9, s3
	s_lshl_b64 s[26:27], s[26:27], 3
	s_add_u32 s89, s22, s26
	s_mul_hi_i32 s43, s7, s36
	s_mul_i32 s42, s7, s36
	s_addc_u32 s90, s23, s27
	s_lshl_b64 s[48:49], s[42:43], 3
	s_add_u32 s91, s24, s48
	s_addc_u32 s92, s25, s49
	s_ashr_i32 s29, s28, 31
	s_ashr_i32 s43, s11, 31
	s_add_u32 s93, s16, s34
	s_addc_u32 s94, s17, s35
	s_add_u32 s95, s93, 8
	s_addc_u32 s58, s94, 0
	s_ashr_i32 s31, s30, 31
	s_lshl_b64 s[44:45], s[30:31], 3
	s_lshl_b64 s[46:47], s[28:29], 3
	s_add_u32 s7, s48, s46
	s_addc_u32 s22, s49, s47
	s_add_u32 s7, s24, s7
	s_addc_u32 s22, s25, s22
	s_add_u32 s24, s7, -16
	s_addc_u32 s25, s22, -1
	s_add_u32 s22, s91, -8
	s_addc_u32 s23, s92, -1
	;; [unrolled: 2-line block ×4, first 2 shown]
	v_writelane_b32 v62, s24, 2
	s_add_u32 s2, s2, s26
	v_writelane_b32 v62, s25, 3
	s_addc_u32 s3, s3, s27
	s_load_dwordx4 s[24:27], s[4:5], 0x58
	s_load_dwordx2 s[54:55], s[4:5], 0x68
	v_ashrrev_i32_e32 v5, 31, v4
	s_add_u32 s2, s8, s2
	s_mov_b32 s42, s11
	s_waitcnt lgkmcnt(0)
	v_mul_f64 v[8:9], s[24:25], s[24:25]
	v_lshlrev_b64 v[0:1], 3, v[4:5]
	s_addc_u32 s3, s9, s3
	s_lshl_b64 s[56:57], s[42:43], 3
	s_sub_u32 s59, 0, s56
	v_mov_b32_e32 v2, s3
	v_add_co_u32_e32 v5, vcc, s2, v0
	s_subb_u32 s48, 0, s57
	v_addc_co_u32_e32 v55, vcc, v2, v1, vcc
                                        ; implicit-def: $vgpr0_vgpr1
	s_mov_b32 s80, 0x667f3bcd
	s_add_u32 s49, s93, -8
	s_mov_b32 s60, 0
	v_writelane_b32 v62, s22, 4
	v_mov_b32_e32 v56, 0x260
	v_mov_b32_e32 v57, 0x100
	;; [unrolled: 1-line block ×3, first 2 shown]
                                        ; kill: killed $vgpr0_vgpr1
                                        ; implicit-def: $vgpr0_vgpr1
	s_mov_b32 s81, 0x3ff6a09e
	s_addc_u32 s50, s94, -1
	v_cmp_gt_i32_e64 s[2:3], s28, v4
	s_brev_b32 s61, 8
	s_mov_b32 s63, 0
	v_writelane_b32 v62, s23, 5
                                        ; implicit-def: $vgpr61
                                        ; implicit-def: $vgpr18_vgpr19
                                        ; implicit-def: $vgpr22_vgpr23
                                        ; implicit-def: $vgpr10_vgpr11
                                        ; implicit-def: $vgpr16_vgpr17
                                        ; kill: killed $vgpr0_vgpr1
                                        ; implicit-def: $vgpr60
                                        ; implicit-def: $vgpr59
                                        ; implicit-def: $vgpr0_vgpr1
                                        ; kill: killed $vgpr0_vgpr1
	s_branch .LBB12_7
.LBB12_4:                               ;   in Loop: Header=BB12_7 Depth=1
	s_or_b64 exec, exec, s[4:5]
.LBB12_5:                               ;   in Loop: Header=BB12_7 Depth=1
	s_waitcnt vmcnt(0)
	s_barrier
.LBB12_6:                               ;   in Loop: Header=BB12_7 Depth=1
	ds_read2_b32 v[0:1], v6 offset0:6 offset1:9
	s_waitcnt lgkmcnt(0)
	v_cmp_gt_i32_e32 vcc, s28, v0
	v_cmp_gt_i32_e64 s[4:5], s33, v1
	s_and_b64 s[4:5], vcc, s[4:5]
	s_andn2_b64 vcc, exec, s[4:5]
	v_readfirstlane_b32 s6, v0
	s_cbranch_vccnz .LBB12_223
.LBB12_7:                               ; =>This Loop Header: Depth=1
                                        ;     Child Loop BB12_15 Depth 2
                                        ;     Child Loop BB12_28 Depth 2
	;; [unrolled: 1-line block ×5, first 2 shown]
                                        ;       Child Loop BB12_61 Depth 3
                                        ;       Child Loop BB12_81 Depth 3
	;; [unrolled: 1-line block ×3, first 2 shown]
                                        ;         Child Loop BB12_129 Depth 4
                                        ;     Child Loop BB12_133 Depth 2
                                        ;       Child Loop BB12_139 Depth 3
                                        ;       Child Loop BB12_159 Depth 3
	;; [unrolled: 1-line block ×3, first 2 shown]
                                        ;         Child Loop BB12_207 Depth 4
                                        ;     Child Loop BB12_215 Depth 2
                                        ;     Child Loop BB12_222 Depth 2
	s_and_saveexec_b64 s[64:65], s[0:1]
	s_cbranch_execz .LBB12_31
; %bb.8:                                ;   in Loop: Header=BB12_7 Depth=1
	s_cmp_lt_i32 s6, 1
	s_cbranch_scc1 .LBB12_10
; %bb.9:                                ;   in Loop: Header=BB12_7 Depth=1
	s_mov_b32 s7, s63
	s_lshl_b64 s[4:5], s[6:7], 3
	s_add_u32 s4, s10, s4
	s_addc_u32 s5, s88, s5
	v_mov_b32_e32 v7, v6
	global_store_dwordx2 v6, v[6:7], s[4:5] offset:-8
.LBB12_10:                              ;   in Loop: Header=BB12_7 Depth=1
	s_mov_b64 s[66:67], -1
	s_mov_b64 s[70:71], 0
	s_cmp_lt_i32 s6, s38
	s_mov_b64 s[4:5], 0
	s_cbranch_scc1 .LBB12_12
; %bb.11:                               ;   in Loop: Header=BB12_7 Depth=1
	s_ashr_i32 s7, s6, 31
	s_mov_b64 s[66:67], 0
	s_mov_b64 s[4:5], -1
.LBB12_12:                              ;   in Loop: Header=BB12_7 Depth=1
	s_andn2_b64 vcc, exec, s[66:67]
	s_cbranch_vccnz .LBB12_17
; %bb.13:                               ;   in Loop: Header=BB12_7 Depth=1
	s_ashr_i32 s7, s6, 31
	s_lshl_b64 s[66:67], s[6:7], 3
	s_add_u32 s72, s10, s66
	s_addc_u32 s73, s88, s67
	s_add_u32 s70, s95, s66
	s_addc_u32 s71, s58, s67
	s_mov_b64 s[74:75], s[6:7]
	s_branch .LBB12_15
.LBB12_14:                              ;   in Loop: Header=BB12_15 Depth=2
	s_andn2_b64 vcc, exec, s[78:79]
	s_cbranch_vccz .LBB12_18
.LBB12_15:                              ;   Parent Loop BB12_7 Depth=1
                                        ; =>  This Inner Loop Header: Depth=2
	s_nop 0
	global_load_dwordx2 v[18:19], v6, s[72:73]
	global_load_dwordx4 v[0:3], v6, s[70:71] offset:-8
	s_mov_b64 s[66:67], s[72:73]
	s_mov_b64 s[68:69], s[74:75]
	s_mov_b64 s[76:77], -1
	s_mov_b64 s[78:79], -1
                                        ; implicit-def: $sgpr74_sgpr75
	s_waitcnt vmcnt(0)
	v_cmp_lt_f64_e64 s[72:73], |v[0:1]|, s[60:61]
	s_and_b64 s[72:73], s[72:73], exec
	s_cselect_b32 s22, 0x100, 0
	v_ldexp_f64 v[0:1], |v[0:1]|, s22
	v_cmp_lt_f64_e64 s[72:73], |v[2:3]|, s[60:61]
	s_cselect_b32 s22, 0xffffff80, 0
	v_rsq_f64_e32 v[20:21], v[0:1]
	s_and_b64 s[72:73], s[72:73], exec
	v_cmp_class_f64_e32 vcc, v[0:1], v56
	v_mul_f64 v[22:23], v[0:1], v[20:21]
	v_mul_f64 v[20:21], v[20:21], 0.5
	v_fma_f64 v[24:25], -v[20:21], v[22:23], 0.5
	v_fma_f64 v[22:23], v[22:23], v[24:25], v[22:23]
	v_fma_f64 v[20:21], v[20:21], v[24:25], v[20:21]
	v_fma_f64 v[26:27], -v[22:23], v[22:23], v[0:1]
	v_fma_f64 v[22:23], v[26:27], v[20:21], v[22:23]
	v_fma_f64 v[24:25], -v[22:23], v[22:23], v[0:1]
	v_fma_f64 v[20:21], v[24:25], v[20:21], v[22:23]
	v_ldexp_f64 v[20:21], v[20:21], s22
	s_cselect_b32 s22, 0x100, 0
	v_ldexp_f64 v[2:3], |v[2:3]|, s22
	s_cselect_b32 s22, 0xffffff80, 0
	v_cndmask_b32_e32 v1, v21, v1, vcc
	v_cndmask_b32_e32 v0, v20, v0, vcc
	v_rsq_f64_e32 v[20:21], v[2:3]
	v_cmp_class_f64_e32 vcc, v[2:3], v56
	v_mul_f64 v[22:23], v[2:3], v[20:21]
	v_mul_f64 v[20:21], v[20:21], 0.5
	v_fma_f64 v[24:25], -v[20:21], v[22:23], 0.5
	v_fma_f64 v[22:23], v[22:23], v[24:25], v[22:23]
	v_fma_f64 v[20:21], v[20:21], v[24:25], v[20:21]
	v_fma_f64 v[26:27], -v[22:23], v[22:23], v[2:3]
	v_fma_f64 v[22:23], v[26:27], v[20:21], v[22:23]
	v_fma_f64 v[24:25], -v[22:23], v[22:23], v[2:3]
	v_fma_f64 v[20:21], v[24:25], v[20:21], v[22:23]
	v_ldexp_f64 v[20:21], v[20:21], s22
	v_cndmask_b32_e32 v3, v21, v3, vcc
	v_cndmask_b32_e32 v2, v20, v2, vcc
	v_mul_f64 v[0:1], v[0:1], v[2:3]
	v_mul_f64 v[0:1], s[24:25], v[0:1]
	v_cmp_nle_f64_e64 s[72:73], |v[18:19]|, v[0:1]
	s_and_b64 vcc, exec, s[72:73]
                                        ; implicit-def: $sgpr72_sgpr73
	s_cbranch_vccz .LBB12_14
; %bb.16:                               ;   in Loop: Header=BB12_15 Depth=2
	s_add_u32 s74, s68, 1
	s_addc_u32 s75, s69, 0
	s_add_u32 s72, s66, 8
	s_addc_u32 s73, s67, 0
	;; [unrolled: 2-line block ×3, first 2 shown]
	s_cmp_ge_i32 s74, s38
	s_mov_b64 s[76:77], 0
	s_cselect_b64 s[78:79], -1, 0
	s_branch .LBB12_14
.LBB12_17:                              ;   in Loop: Header=BB12_7 Depth=1
	s_mov_b32 s39, s6
	s_mov_b64 s[72:73], s[6:7]
	s_and_b64 vcc, exec, s[4:5]
	s_cbranch_vccnz .LBB12_21
	s_branch .LBB12_22
.LBB12_18:                              ;   in Loop: Header=BB12_7 Depth=1
	s_xor_b64 s[22:23], s[76:77], -1
	s_mov_b64 s[70:71], -1
	s_and_b64 vcc, exec, s[22:23]
                                        ; implicit-def: $sgpr72_sgpr73
	s_cbranch_vccz .LBB12_20
; %bb.19:                               ;   in Loop: Header=BB12_7 Depth=1
	s_ashr_i32 s39, s38, 31
	s_mov_b64 s[4:5], -1
	s_mov_b64 s[70:71], 0
	s_mov_b64 s[72:73], s[38:39]
.LBB12_20:                              ;   in Loop: Header=BB12_7 Depth=1
	v_mov_b32_e32 v18, s68
	v_mov_b32_e32 v0, s66
	;; [unrolled: 1-line block ×7, first 2 shown]
	s_mov_b32 s39, s38
	buffer_store_dword v0, off, s[96:99], 0 offset:16 ; 4-byte Folded Spill
	s_nop 0
	buffer_store_dword v1, off, s[96:99], 0 offset:20 ; 4-byte Folded Spill
	s_and_b64 vcc, exec, s[4:5]
	s_cbranch_vccz .LBB12_22
.LBB12_21:                              ;   in Loop: Header=BB12_7 Depth=1
	v_mov_b32_e32 v0, s39
	ds_write_b32 v6, v0 offset:20
.LBB12_22:                              ;   in Loop: Header=BB12_7 Depth=1
	v_mov_b32_e32 v0, s6
	v_mov_b32_e32 v2, s72
	s_andn2_b64 vcc, exec, s[70:71]
	v_mov_b32_e32 v1, s7
	v_mov_b32_e32 v3, s73
	;; [unrolled: 1-line block ×3, first 2 shown]
	s_cbranch_vccnz .LBB12_24
; %bb.23:                               ;   in Loop: Header=BB12_7 Depth=1
	ds_write_b32 v6, v61 offset:20
	buffer_load_dword v0, off, s[96:99], 0 offset:16 ; 4-byte Folded Reload
	buffer_load_dword v1, off, s[96:99], 0 offset:20 ; 4-byte Folded Reload
	v_mov_b32_e32 v7, v6
	v_mov_b32_e32 v2, v18
	;; [unrolled: 1-line block ×3, first 2 shown]
	s_waitcnt vmcnt(0)
	global_store_dwordx2 v[0:1], v[6:7], off
	v_mov_b32_e32 v0, v22
	v_mov_b32_e32 v1, v23
	;; [unrolled: 1-line block ×3, first 2 shown]
.LBB12_24:                              ;   in Loop: Header=BB12_7 Depth=1
	v_lshlrev_b64 v[2:3], 3, v[2:3]
	v_mov_b32_e32 v12, s19
	v_add_co_u32_e32 v2, vcc, s18, v2
	v_lshlrev_b64 v[24:25], 3, v[0:1]
	v_addc_co_u32_e32 v3, vcc, v12, v3, vcc
	v_mov_b32_e32 v0, s19
	v_add_co_u32_e32 v26, vcc, s18, v24
	v_addc_co_u32_e32 v27, vcc, v0, v25, vcc
	global_load_dwordx2 v[0:1], v[2:3], off
	s_nop 0
	global_load_dwordx2 v[2:3], v[26:27], off
	s_waitcnt vmcnt(0)
	v_cmp_lt_f64_e64 s[66:67], |v[0:1]|, |v[2:3]|
	v_mov_b32_e32 v3, s6
	v_add_u32_e32 v2, 1, v7
	ds_write_b32 v6, v3 offset:16
	ds_write2_b32 v6, v7, v7 offset0:8 offset1:10
	ds_write_b64 v6, v[2:3] offset:24
	s_and_saveexec_b64 s[4:5], s[66:67]
; %bb.25:                               ;   in Loop: Header=BB12_7 Depth=1
	v_mov_b32_e32 v2, s6
	ds_write2_b32 v6, v7, v2 offset0:4 offset1:8
; %bb.26:                               ;   in Loop: Header=BB12_7 Depth=1
	s_or_b64 exec, exec, s[4:5]
	v_and_b32_e32 v1, 0x7fffffff, v1
	v_cmp_lt_i32_e32 vcc, s6, v7
	s_and_saveexec_b64 s[66:67], vcc
	s_cbranch_execz .LBB12_30
; %bb.27:                               ;   in Loop: Header=BB12_7 Depth=1
	v_mov_b32_e32 v3, s94
	v_add_co_u32_e32 v2, vcc, s93, v24
	v_addc_co_u32_e32 v3, vcc, v3, v25, vcc
	v_mov_b32_e32 v12, s88
	v_add_co_u32_e32 v24, vcc, s10, v24
	v_addc_co_u32_e32 v25, vcc, v12, v25, vcc
	s_mov_b64 s[68:69], 0
.LBB12_28:                              ;   Parent Loop BB12_7 Depth=1
                                        ; =>  This Inner Loop Header: Depth=2
	global_load_dwordx2 v[26:27], v[24:25], off
	global_load_dwordx2 v[28:29], v[2:3], off
	v_max_f64 v[0:1], v[0:1], v[0:1]
	v_add_co_u32_e32 v2, vcc, 8, v2
	s_add_i32 s6, s6, 1
	v_addc_co_u32_e32 v3, vcc, 0, v3, vcc
	v_add_co_u32_e32 v24, vcc, 8, v24
	v_cmp_ge_i32_e64 s[4:5], s6, v7
	s_or_b64 s[68:69], s[4:5], s[68:69]
	v_addc_co_u32_e32 v25, vcc, 0, v25, vcc
	s_waitcnt vmcnt(1)
	v_max_f64 v[26:27], |v[26:27]|, |v[26:27]|
	s_waitcnt vmcnt(0)
	v_max_f64 v[28:29], |v[28:29]|, |v[28:29]|
	v_max_f64 v[26:27], v[28:29], v[26:27]
	v_max_f64 v[0:1], v[0:1], v[26:27]
	s_andn2_b64 exec, exec, s[68:69]
	s_cbranch_execnz .LBB12_28
; %bb.29:                               ;   in Loop: Header=BB12_7 Depth=1
	s_or_b64 exec, exec, s[68:69]
.LBB12_30:                              ;   in Loop: Header=BB12_7 Depth=1
	s_or_b64 exec, exec, s[66:67]
	ds_write_b64 v6, v[0:1] offset:8
.LBB12_31:                              ;   in Loop: Header=BB12_7 Depth=1
	s_or_b64 exec, exec, s[64:65]
	s_waitcnt lgkmcnt(0)
	s_barrier
	ds_read_b64 v[0:1], v6 offset:8
	ds_read2_b32 v[2:3], v6 offset0:4 offset1:8
	s_waitcnt lgkmcnt(1)
	v_cmp_eq_f64_e32 vcc, 0, v[0:1]
	s_waitcnt lgkmcnt(0)
	v_cmp_eq_u32_e64 s[4:5], v3, v2
	s_or_b64 s[4:5], s[4:5], vcc
	s_and_b64 vcc, exec, s[4:5]
	s_cbranch_vccnz .LBB12_6
; %bb.32:                               ;   in Loop: Header=BB12_7 Depth=1
	v_cmp_nlt_f64_e32 vcc, s[54:55], v[0:1]
	s_mov_b64 s[4:5], -1
	s_cbranch_vccz .LBB12_41
; %bb.33:                               ;   in Loop: Header=BB12_7 Depth=1
	v_cmp_ngt_f64_e32 vcc, s[26:27], v[0:1]
	s_cbranch_vccnz .LBB12_40
; %bb.34:                               ;   in Loop: Header=BB12_7 Depth=1
	v_div_scale_f64 v[2:3], s[4:5], s[26:27], s[26:27], v[0:1]
	v_div_scale_f64 v[28:29], vcc, v[0:1], s[26:27], v[0:1]
	v_rcp_f64_e32 v[24:25], v[2:3]
	v_fma_f64 v[26:27], -v[2:3], v[24:25], 1.0
	v_fma_f64 v[24:25], v[24:25], v[26:27], v[24:25]
	v_fma_f64 v[26:27], -v[2:3], v[24:25], 1.0
	v_fma_f64 v[24:25], v[24:25], v[26:27], v[24:25]
	v_mul_f64 v[26:27], v[28:29], v[24:25]
	v_fma_f64 v[2:3], -v[2:3], v[26:27], v[28:29]
	v_div_fmas_f64 v[2:3], v[2:3], v[24:25], v[26:27]
	ds_read2_b32 v[24:25], v6 offset0:7 offset1:10
	v_div_fixup_f64 v[2:3], v[2:3], s[26:27], v[0:1]
	s_and_saveexec_b64 s[4:5], s[0:1]
	s_cbranch_execz .LBB12_36
; %bb.35:                               ;   in Loop: Header=BB12_7 Depth=1
	s_waitcnt lgkmcnt(0)
	v_ashrrev_i32_e32 v27, 31, v25
	v_mov_b32_e32 v26, v25
	v_lshlrev_b64 v[26:27], 3, v[26:27]
	v_mov_b32_e32 v7, s19
	v_add_co_u32_e32 v26, vcc, s18, v26
	v_addc_co_u32_e32 v27, vcc, v7, v27, vcc
	global_load_dwordx2 v[28:29], v[26:27], off
	s_waitcnt vmcnt(0)
	v_mul_f64 v[28:29], v[2:3], v[28:29]
	global_store_dwordx2 v[26:27], v[28:29], off
.LBB12_36:                              ;   in Loop: Header=BB12_7 Depth=1
	s_or_b64 exec, exec, s[4:5]
	s_waitcnt lgkmcnt(0)
	v_add_u32_e32 v26, v24, v4
	v_cmp_lt_i32_e32 vcc, v26, v25
	s_and_saveexec_b64 s[4:5], vcc
	s_cbranch_execz .LBB12_39
; %bb.37:                               ;   in Loop: Header=BB12_7 Depth=1
	v_ashrrev_i32_e32 v27, 31, v26
	v_lshlrev_b64 v[27:28], 3, v[26:27]
	s_mov_b64 s[6:7], 0
.LBB12_38:                              ;   Parent Loop BB12_7 Depth=1
                                        ; =>  This Inner Loop Header: Depth=2
	v_add_co_u32_e32 v29, vcc, s18, v27
	v_mov_b32_e32 v7, s19
	v_addc_co_u32_e32 v30, vcc, v7, v28, vcc
	global_load_dwordx2 v[31:32], v[29:30], off
	v_mov_b32_e32 v7, s88
	v_add_u32_e32 v26, s30, v26
	s_waitcnt vmcnt(0)
	v_mul_f64 v[31:32], v[2:3], v[31:32]
	global_store_dwordx2 v[29:30], v[31:32], off
	v_add_co_u32_e32 v29, vcc, s10, v27
	v_addc_co_u32_e32 v30, vcc, v7, v28, vcc
	global_load_dwordx2 v[31:32], v[29:30], off
	v_add_co_u32_e32 v27, vcc, s44, v27
	v_mov_b32_e32 v7, s45
	v_addc_co_u32_e32 v28, vcc, v28, v7, vcc
	v_cmp_ge_i32_e32 vcc, v26, v25
	s_or_b64 s[6:7], vcc, s[6:7]
	s_waitcnt vmcnt(0)
	v_mul_f64 v[31:32], v[2:3], v[31:32]
	global_store_dwordx2 v[29:30], v[31:32], off
	s_andn2_b64 exec, exec, s[6:7]
	s_cbranch_execnz .LBB12_38
.LBB12_39:                              ;   in Loop: Header=BB12_7 Depth=1
	s_or_b64 exec, exec, s[4:5]
.LBB12_40:                              ;   in Loop: Header=BB12_7 Depth=1
	s_mov_b64 s[4:5], 0
.LBB12_41:                              ;   in Loop: Header=BB12_7 Depth=1
	s_andn2_b64 vcc, exec, s[4:5]
	s_cbranch_vccnz .LBB12_48
; %bb.42:                               ;   in Loop: Header=BB12_7 Depth=1
	v_div_scale_f64 v[2:3], s[4:5], s[54:55], s[54:55], v[0:1]
	v_div_scale_f64 v[28:29], vcc, v[0:1], s[54:55], v[0:1]
	v_rcp_f64_e32 v[24:25], v[2:3]
	v_fma_f64 v[26:27], -v[2:3], v[24:25], 1.0
	v_fma_f64 v[24:25], v[24:25], v[26:27], v[24:25]
	v_fma_f64 v[26:27], -v[2:3], v[24:25], 1.0
	v_fma_f64 v[24:25], v[24:25], v[26:27], v[24:25]
	v_mul_f64 v[26:27], v[28:29], v[24:25]
	v_fma_f64 v[2:3], -v[2:3], v[26:27], v[28:29]
	v_div_fmas_f64 v[2:3], v[2:3], v[24:25], v[26:27]
	v_div_fixup_f64 v[0:1], v[2:3], s[54:55], v[0:1]
	ds_read2_b32 v[2:3], v6 offset0:7 offset1:10
	s_and_saveexec_b64 s[4:5], s[0:1]
	s_cbranch_execz .LBB12_44
; %bb.43:                               ;   in Loop: Header=BB12_7 Depth=1
	s_waitcnt lgkmcnt(0)
	v_ashrrev_i32_e32 v25, 31, v3
	v_mov_b32_e32 v24, v3
	v_lshlrev_b64 v[24:25], 3, v[24:25]
	v_mov_b32_e32 v7, s19
	v_add_co_u32_e32 v24, vcc, s18, v24
	v_addc_co_u32_e32 v25, vcc, v7, v25, vcc
	global_load_dwordx2 v[26:27], v[24:25], off
	s_waitcnt vmcnt(0)
	v_mul_f64 v[26:27], v[0:1], v[26:27]
	global_store_dwordx2 v[24:25], v[26:27], off
.LBB12_44:                              ;   in Loop: Header=BB12_7 Depth=1
	s_or_b64 exec, exec, s[4:5]
	s_waitcnt lgkmcnt(0)
	v_add_u32_e32 v24, v2, v4
	v_cmp_lt_i32_e32 vcc, v24, v3
	s_and_saveexec_b64 s[4:5], vcc
	s_cbranch_execz .LBB12_47
; %bb.45:                               ;   in Loop: Header=BB12_7 Depth=1
	v_ashrrev_i32_e32 v25, 31, v24
	v_lshlrev_b64 v[25:26], 3, v[24:25]
	s_mov_b64 s[6:7], 0
.LBB12_46:                              ;   Parent Loop BB12_7 Depth=1
                                        ; =>  This Inner Loop Header: Depth=2
	v_mov_b32_e32 v2, s19
	v_add_co_u32_e32 v27, vcc, s18, v25
	v_addc_co_u32_e32 v28, vcc, v2, v26, vcc
	global_load_dwordx2 v[29:30], v[27:28], off
	v_mov_b32_e32 v2, s88
	v_add_co_u32_e32 v31, vcc, s10, v25
	v_addc_co_u32_e32 v32, vcc, v2, v26, vcc
	v_mov_b32_e32 v2, s45
	v_add_co_u32_e32 v25, vcc, s44, v25
	v_add_u32_e32 v24, s30, v24
	v_addc_co_u32_e32 v26, vcc, v26, v2, vcc
	v_cmp_ge_i32_e32 vcc, v24, v3
	s_or_b64 s[6:7], vcc, s[6:7]
	s_waitcnt vmcnt(0)
	v_mul_f64 v[29:30], v[0:1], v[29:30]
	global_store_dwordx2 v[27:28], v[29:30], off
	global_load_dwordx2 v[27:28], v[31:32], off
	s_waitcnt vmcnt(0)
	v_mul_f64 v[27:28], v[0:1], v[27:28]
	global_store_dwordx2 v[31:32], v[27:28], off
	s_andn2_b64 exec, exec, s[6:7]
	s_cbranch_execnz .LBB12_46
.LBB12_47:                              ;   in Loop: Header=BB12_7 Depth=1
	s_or_b64 exec, exec, s[4:5]
.LBB12_48:                              ;   in Loop: Header=BB12_7 Depth=1
	s_waitcnt vmcnt(0)
	s_barrier
	ds_read_b32 v24, v6 offset:16
	ds_read_b64 v[26:27], v6 offset:32
	s_mov_b64 s[6:7], -1
                                        ; implicit-def: $vgpr30_vgpr31
                                        ; implicit-def: $vgpr28_vgpr29
                                        ; implicit-def: $vgpr25
	s_waitcnt lgkmcnt(0)
	v_cmp_gt_i32_e64 s[4:5], s33, v27
	v_cmp_lt_i32_e32 vcc, v26, v24
	v_cndmask_b32_e64 v0, 0, 1, s[4:5]
	v_cmp_ne_u32_e64 s[4:5], 1, v0
	s_cbranch_vccnz .LBB12_51
; %bb.49:                               ;   in Loop: Header=BB12_7 Depth=1
	buffer_load_dword v30, off, s[96:99], 0 offset:8 ; 4-byte Folded Reload
	buffer_load_dword v31, off, s[96:99], 0 offset:12 ; 4-byte Folded Reload
	buffer_load_dword v28, off, s[96:99], 0 ; 4-byte Folded Reload
	buffer_load_dword v29, off, s[96:99], 0 offset:4 ; 4-byte Folded Reload
	s_and_b64 vcc, exec, s[4:5]
	v_mov_b32_e32 v25, v59
	v_mov_b32_e32 v37, v27
	v_mov_b32_e32 v36, v26
	v_mov_b32_e32 v32, v24
	s_cbranch_vccz .LBB12_55
.LBB12_50:                              ;   in Loop: Header=BB12_7 Depth=1
	s_mov_b64 s[6:7], 0
.LBB12_51:                              ;   in Loop: Header=BB12_7 Depth=1
	s_andn2_b64 vcc, exec, s[6:7]
	s_cbranch_vccnz .LBB12_209
; %bb.52:                               ;   in Loop: Header=BB12_7 Depth=1
	s_and_b64 vcc, exec, s[4:5]
	s_cbranch_vccz .LBB12_133
	s_branch .LBB12_210
.LBB12_53:                              ;   in Loop: Header=BB12_55 Depth=2
	s_or_b64 exec, exec, s[64:65]
	s_waitcnt vmcnt(0)
	s_barrier
	ds_read_b32 v32, v6 offset:16
.LBB12_54:                              ;   in Loop: Header=BB12_55 Depth=2
	ds_read_b64 v[36:37], v6 offset:32
	s_waitcnt lgkmcnt(0)
	v_cmp_le_i32_e32 vcc, v32, v36
	v_cmp_gt_i32_e64 s[6:7], s33, v37
	s_and_b64 s[6:7], vcc, s[6:7]
	s_andn2_b64 vcc, exec, s[6:7]
	s_cbranch_vccnz .LBB12_50
.LBB12_55:                              ;   Parent Loop BB12_7 Depth=1
                                        ; =>  This Loop Header: Depth=2
                                        ;       Child Loop BB12_61 Depth 3
                                        ;       Child Loop BB12_81 Depth 3
	;; [unrolled: 1-line block ×3, first 2 shown]
                                        ;         Child Loop BB12_129 Depth 4
	s_and_saveexec_b64 s[64:65], s[0:1]
	s_cbranch_execz .LBB12_124
; %bb.56:                               ;   in Loop: Header=BB12_55 Depth=2
	v_cmp_lt_i32_e32 vcc, v32, v36
	s_mov_b64 s[6:7], 0
	s_cbranch_vccnz .LBB12_58
; %bb.57:                               ;   in Loop: Header=BB12_55 Depth=2
	v_ashrrev_i32_e32 v33, 31, v32
	v_mov_b32_e32 v1, v32
	s_mov_b64 s[66:67], -1
	v_mov_b32_e32 v2, v33
	v_mov_b32_e32 v0, v32
	s_cbranch_execz .LBB12_59
	s_branch .LBB12_64
.LBB12_58:                              ;   in Loop: Header=BB12_55 Depth=2
                                        ; implicit-def: $vgpr1_vgpr2
	s_mov_b64 s[66:67], 0
	v_mov_b32_e32 v0, v32
.LBB12_59:                              ;   in Loop: Header=BB12_55 Depth=2
	v_ashrrev_i32_e32 v33, 31, v32
	v_lshlrev_b64 v[0:1], 3, v[32:33]
	v_mov_b32_e32 v3, s88
	v_add_co_u32_e32 v2, vcc, s10, v0
	v_addc_co_u32_e32 v3, vcc, v3, v1, vcc
	v_mov_b32_e32 v7, s94
	v_add_co_u32_e32 v0, vcc, s93, v0
	v_addc_co_u32_e32 v1, vcc, v7, v1, vcc
	v_mov_b32_e32 v7, v32
	s_branch .LBB12_61
.LBB12_60:                              ;   in Loop: Header=BB12_61 Depth=3
	v_add_co_u32_e32 v2, vcc, 8, v28
	v_addc_co_u32_e32 v3, vcc, 0, v29, vcc
	v_add_u32_e32 v7, 1, v25
	v_add_co_u32_e32 v0, vcc, 8, v0
	v_addc_co_u32_e32 v1, vcc, 0, v1, vcc
	s_mov_b64 s[6:7], 0
	v_cmp_ge_i32_e64 s[66:67], v7, v36
	s_andn2_b64 vcc, exec, s[66:67]
	s_cbranch_vccz .LBB12_63
.LBB12_61:                              ;   Parent Loop BB12_7 Depth=1
                                        ;     Parent Loop BB12_55 Depth=2
                                        ; =>    This Inner Loop Header: Depth=3
	global_load_dwordx4 v[38:41], v[0:1], off
	s_waitcnt vmcnt(1)
	v_mov_b32_e32 v29, v3
	v_mov_b32_e32 v28, v2
	global_load_dwordx2 v[2:3], v[2:3], off
	v_mov_b32_e32 v25, v7
	s_waitcnt vmcnt(1)
	v_mul_f64 v[30:31], v[38:39], v[40:41]
	s_waitcnt vmcnt(0)
	v_mul_f64 v[2:3], v[2:3], v[2:3]
	v_mul_f64 v[30:31], v[8:9], |v[30:31]|
	v_cmp_le_f64_e64 s[6:7], |v[2:3]|, v[30:31]
	s_and_b64 vcc, exec, s[6:7]
	s_cbranch_vccz .LBB12_60
; %bb.62:                               ;   in Loop: Header=BB12_55 Depth=2
	s_mov_b64 s[6:7], -1
                                        ; implicit-def: $vgpr7
                                        ; implicit-def: $vgpr2_vgpr3
                                        ; implicit-def: $vgpr0_vgpr1
.LBB12_63:                              ;   in Loop: Header=BB12_55 Depth=2
	v_mov_b32_e32 v30, v32
	v_mov_b32_e32 v1, v32
	s_xor_b64 s[66:67], s[6:7], -1
	s_mov_b64 s[6:7], -1
	v_mov_b32_e32 v31, v33
	v_mov_b32_e32 v0, v36
	;; [unrolled: 1-line block ×3, first 2 shown]
.LBB12_64:                              ;   in Loop: Header=BB12_55 Depth=2
	s_and_b64 vcc, exec, s[66:67]
	s_cbranch_vccnz .LBB12_93
; %bb.65:                               ;   in Loop: Header=BB12_55 Depth=2
	s_andn2_b64 vcc, exec, s[6:7]
	s_cbranch_vccnz .LBB12_67
.LBB12_66:                              ;   in Loop: Header=BB12_55 Depth=2
	s_waitcnt vmcnt(2)
	v_mov_b32_e32 v1, v30
	v_mov_b32_e32 v7, v6
	;; [unrolled: 1-line block ×4, first 2 shown]
	ds_write2_b32 v6, v25, v32 offset0:5 offset1:7
	s_waitcnt vmcnt(0)
	global_store_dwordx2 v[28:29], v[6:7], off
.LBB12_67:                              ;   in Loop: Header=BB12_55 Depth=2
	v_lshlrev_b64 v[35:36], 3, v[1:2]
	v_mov_b32_e32 v1, s19
	v_add_co_u32_e32 v33, vcc, s18, v35
	v_addc_co_u32_e32 v34, vcc, v1, v36, vcc
	global_load_dwordx2 v[47:48], v[33:34], off
	v_cmp_ne_u32_e32 vcc, v0, v32
	v_add_u32_e32 v1, 1, v32
	s_waitcnt vmcnt(0)
	ds_write_b64 v6, v[47:48]
	s_and_saveexec_b64 s[6:7], vcc
	s_xor_b64 s[66:67], exec, s[6:7]
	s_cbranch_execz .LBB12_121
; %bb.68:                               ;   in Loop: Header=BB12_55 Depth=2
	v_cmp_ne_u32_e32 vcc, v0, v1
	s_and_saveexec_b64 s[6:7], vcc
	s_xor_b64 s[68:69], exec, s[6:7]
	s_cbranch_execz .LBB12_97
; %bb.69:                               ;   in Loop: Header=BB12_55 Depth=2
	v_mov_b32_e32 v1, s88
	v_add_co_u32_e32 v2, vcc, s10, v35
	v_addc_co_u32_e32 v3, vcc, v1, v36, vcc
	global_load_dwordx2 v[12:13], v[33:34], off offset:8
	global_load_dwordx2 v[35:36], v[2:3], off
	s_waitcnt vmcnt(1)
	v_add_f64 v[12:13], v[12:13], -v[47:48]
	s_waitcnt vmcnt(0)
	v_add_f64 v[38:39], v[35:36], v[35:36]
	v_div_scale_f64 v[40:41], s[6:7], v[38:39], v[38:39], v[12:13]
	v_rcp_f64_e32 v[42:43], v[40:41]
	v_fma_f64 v[44:45], -v[40:41], v[42:43], 1.0
	v_fma_f64 v[42:43], v[42:43], v[44:45], v[42:43]
	v_div_scale_f64 v[44:45], vcc, v[12:13], v[38:39], v[12:13]
	v_fma_f64 v[49:50], -v[40:41], v[42:43], 1.0
	v_fma_f64 v[42:43], v[42:43], v[49:50], v[42:43]
	v_mul_f64 v[49:50], v[44:45], v[42:43]
	v_fma_f64 v[40:41], -v[40:41], v[49:50], v[44:45]
	v_div_fmas_f64 v[40:41], v[40:41], v[42:43], v[49:50]
	v_div_fixup_f64 v[12:13], v[40:41], v[38:39], v[12:13]
	v_fma_f64 v[38:39], v[12:13], v[12:13], 1.0
	v_cmp_gt_f64_e32 vcc, s[60:61], v[38:39]
	v_cndmask_b32_e32 v1, 0, v57, vcc
	v_ldexp_f64 v[38:39], v[38:39], v1
	v_cndmask_b32_e32 v1, 0, v58, vcc
	v_rsq_f64_e32 v[40:41], v[38:39]
	v_cmp_class_f64_e32 vcc, v[38:39], v56
	v_mul_f64 v[42:43], v[38:39], v[40:41]
	v_mul_f64 v[40:41], v[40:41], 0.5
	v_fma_f64 v[44:45], -v[40:41], v[42:43], 0.5
	v_fma_f64 v[42:43], v[42:43], v[44:45], v[42:43]
	v_fma_f64 v[40:41], v[40:41], v[44:45], v[40:41]
	v_fma_f64 v[44:45], -v[42:43], v[42:43], v[38:39]
	v_fma_f64 v[42:43], v[44:45], v[40:41], v[42:43]
	v_fma_f64 v[44:45], -v[42:43], v[42:43], v[38:39]
	v_fma_f64 v[40:41], v[44:45], v[40:41], v[42:43]
	v_ldexp_f64 v[40:41], v[40:41], v1
	v_cndmask_b32_e32 v1, v41, v39, vcc
	v_cndmask_b32_e32 v38, v40, v38, vcc
	v_cmp_nle_f64_e32 vcc, 0, v[12:13]
	v_and_b32_e32 v7, 0x7fffffff, v1
	v_or_b32_e32 v1, 0x80000000, v1
	v_cndmask_b32_e32 v39, v7, v1, vcc
	v_add_f64 v[12:13], v[12:13], v[38:39]
	v_ashrrev_i32_e32 v1, 31, v0
	v_lshlrev_b64 v[43:44], 3, v[0:1]
	v_mov_b32_e32 v7, s19
	v_add_co_u32_e32 v41, vcc, s18, v43
	v_addc_co_u32_e32 v42, vcc, v7, v44, vcc
	v_div_scale_f64 v[38:39], s[6:7], v[12:13], v[12:13], v[35:36]
	global_load_dwordx2 v[45:46], v[41:42], off
	v_div_scale_f64 v[53:54], vcc, v[35:36], v[12:13], v[35:36]
	v_add_u32_e32 v1, 1, v37
	v_mov_b32_e32 v7, v6
	ds_write_b32 v6, v1 offset:36
	ds_write_b64 v6, v[6:7]
	v_rcp_f64_e32 v[49:50], v[38:39]
	v_fma_f64 v[51:52], -v[38:39], v[49:50], 1.0
	v_fma_f64 v[49:50], v[49:50], v[51:52], v[49:50]
	v_fma_f64 v[51:52], -v[38:39], v[49:50], 1.0
	v_fma_f64 v[49:50], v[49:50], v[51:52], v[49:50]
	v_mul_f64 v[51:52], v[53:54], v[49:50]
	v_fma_f64 v[38:39], -v[38:39], v[51:52], v[53:54]
	v_div_fmas_f64 v[38:39], v[38:39], v[49:50], v[51:52]
	v_cmp_gt_i32_e32 vcc, v0, v32
	s_waitcnt vmcnt(0)
	v_add_f64 v[49:50], v[45:46], -v[47:48]
	v_div_fixup_f64 v[12:13], v[38:39], v[12:13], v[35:36]
	v_mov_b32_e32 v39, 0
	v_mov_b32_e32 v40, 0
	v_add_f64 v[35:36], v[49:50], v[12:13]
	s_and_saveexec_b64 s[70:71], vcc
	s_cbranch_execz .LBB12_96
; %bb.70:                               ;   in Loop: Header=BB12_55 Depth=2
	v_mov_b32_e32 v1, s88
	v_add_co_u32_e32 v12, vcc, s10, v43
	v_addc_co_u32_e32 v13, vcc, v1, v44, vcc
	global_load_dwordx2 v[49:50], v[12:13], off offset:-8
	v_mov_b32_e32 v47, 0
	v_mov_b32_e32 v37, 0
	;; [unrolled: 1-line block ×4, first 2 shown]
	s_waitcnt vmcnt(0)
	v_cmp_neq_f64_e32 vcc, 0, v[49:50]
	s_and_saveexec_b64 s[6:7], vcc
	s_cbranch_execz .LBB12_78
; %bb.71:                               ;   in Loop: Header=BB12_55 Depth=2
	v_cmp_neq_f64_e32 vcc, 0, v[35:36]
	v_mov_b32_e32 v37, 0
	v_mov_b32_e32 v47, 0
	;; [unrolled: 1-line block ×4, first 2 shown]
	s_and_saveexec_b64 s[72:73], vcc
	s_cbranch_execz .LBB12_77
; %bb.72:                               ;   in Loop: Header=BB12_55 Depth=2
	v_cmp_ngt_f64_e64 s[74:75], |v[49:50]|, |v[35:36]|
                                        ; implicit-def: $vgpr47_vgpr48
                                        ; implicit-def: $vgpr37_vgpr38
	s_and_saveexec_b64 s[76:77], s[74:75]
	s_xor_b64 s[74:75], exec, s[76:77]
	s_cbranch_execz .LBB12_74
; %bb.73:                               ;   in Loop: Header=BB12_55 Depth=2
	v_div_scale_f64 v[12:13], s[76:77], v[35:36], v[35:36], -v[49:50]
	v_rcp_f64_e32 v[37:38], v[12:13]
	v_fma_f64 v[39:40], -v[12:13], v[37:38], 1.0
	v_fma_f64 v[37:38], v[37:38], v[39:40], v[37:38]
	v_div_scale_f64 v[39:40], vcc, -v[49:50], v[35:36], -v[49:50]
	v_fma_f64 v[47:48], -v[12:13], v[37:38], 1.0
	v_fma_f64 v[37:38], v[37:38], v[47:48], v[37:38]
	v_mul_f64 v[47:48], v[39:40], v[37:38]
	v_fma_f64 v[12:13], -v[12:13], v[47:48], v[39:40]
	v_div_fmas_f64 v[12:13], v[12:13], v[37:38], v[47:48]
	v_div_fixup_f64 v[12:13], v[12:13], v[35:36], -v[49:50]
	v_fma_f64 v[35:36], v[12:13], v[12:13], 1.0
	v_cmp_gt_f64_e32 vcc, s[60:61], v[35:36]
	v_cndmask_b32_e32 v1, 0, v57, vcc
	v_ldexp_f64 v[35:36], v[35:36], v1
	v_cndmask_b32_e32 v1, 0, v58, vcc
	v_rsq_f64_e32 v[37:38], v[35:36]
	v_cmp_class_f64_e32 vcc, v[35:36], v56
	v_mul_f64 v[39:40], v[35:36], v[37:38]
	v_mul_f64 v[37:38], v[37:38], 0.5
	v_fma_f64 v[47:48], -v[37:38], v[39:40], 0.5
	v_fma_f64 v[39:40], v[39:40], v[47:48], v[39:40]
	v_fma_f64 v[37:38], v[37:38], v[47:48], v[37:38]
	v_fma_f64 v[47:48], -v[39:40], v[39:40], v[35:36]
	v_fma_f64 v[39:40], v[47:48], v[37:38], v[39:40]
	v_fma_f64 v[47:48], -v[39:40], v[39:40], v[35:36]
	v_fma_f64 v[37:38], v[47:48], v[37:38], v[39:40]
	v_ldexp_f64 v[37:38], v[37:38], v1
	v_cndmask_b32_e32 v36, v38, v36, vcc
	v_cndmask_b32_e32 v35, v37, v35, vcc
	v_div_scale_f64 v[37:38], s[76:77], v[35:36], v[35:36], 1.0
	v_div_scale_f64 v[51:52], vcc, 1.0, v[35:36], 1.0
	v_rcp_f64_e32 v[39:40], v[37:38]
	v_fma_f64 v[47:48], -v[37:38], v[39:40], 1.0
	v_fma_f64 v[39:40], v[39:40], v[47:48], v[39:40]
	v_fma_f64 v[47:48], -v[37:38], v[39:40], 1.0
	v_fma_f64 v[39:40], v[39:40], v[47:48], v[39:40]
	v_mul_f64 v[47:48], v[51:52], v[39:40]
	v_fma_f64 v[37:38], -v[37:38], v[47:48], v[51:52]
	v_div_fmas_f64 v[37:38], v[37:38], v[39:40], v[47:48]
	v_div_fixup_f64 v[37:38], v[37:38], v[35:36], 1.0
                                        ; implicit-def: $vgpr35_vgpr36
	v_mul_f64 v[47:48], v[12:13], v[37:38]
.LBB12_74:                              ;   in Loop: Header=BB12_55 Depth=2
	s_andn2_saveexec_b64 s[74:75], s[74:75]
	s_cbranch_execz .LBB12_76
; %bb.75:                               ;   in Loop: Header=BB12_55 Depth=2
	v_div_scale_f64 v[12:13], s[76:77], v[49:50], v[49:50], -v[35:36]
	v_rcp_f64_e32 v[37:38], v[12:13]
	v_fma_f64 v[39:40], -v[12:13], v[37:38], 1.0
	v_fma_f64 v[37:38], v[37:38], v[39:40], v[37:38]
	v_div_scale_f64 v[39:40], vcc, -v[35:36], v[49:50], -v[35:36]
	v_fma_f64 v[47:48], -v[12:13], v[37:38], 1.0
	v_fma_f64 v[37:38], v[37:38], v[47:48], v[37:38]
	v_mul_f64 v[47:48], v[39:40], v[37:38]
	v_fma_f64 v[12:13], -v[12:13], v[47:48], v[39:40]
	v_div_fmas_f64 v[12:13], v[12:13], v[37:38], v[47:48]
	v_div_fixup_f64 v[12:13], v[12:13], v[49:50], -v[35:36]
	v_fma_f64 v[35:36], v[12:13], v[12:13], 1.0
	v_cmp_gt_f64_e32 vcc, s[60:61], v[35:36]
	v_cndmask_b32_e32 v1, 0, v57, vcc
	v_ldexp_f64 v[35:36], v[35:36], v1
	v_cndmask_b32_e32 v1, 0, v58, vcc
	v_rsq_f64_e32 v[37:38], v[35:36]
	v_cmp_class_f64_e32 vcc, v[35:36], v56
	v_mul_f64 v[39:40], v[35:36], v[37:38]
	v_mul_f64 v[37:38], v[37:38], 0.5
	v_fma_f64 v[47:48], -v[37:38], v[39:40], 0.5
	v_fma_f64 v[39:40], v[39:40], v[47:48], v[39:40]
	v_fma_f64 v[37:38], v[37:38], v[47:48], v[37:38]
	v_fma_f64 v[47:48], -v[39:40], v[39:40], v[35:36]
	v_fma_f64 v[39:40], v[47:48], v[37:38], v[39:40]
	v_fma_f64 v[47:48], -v[39:40], v[39:40], v[35:36]
	v_fma_f64 v[37:38], v[47:48], v[37:38], v[39:40]
	v_ldexp_f64 v[37:38], v[37:38], v1
	v_cndmask_b32_e32 v36, v38, v36, vcc
	v_cndmask_b32_e32 v35, v37, v35, vcc
	v_div_scale_f64 v[37:38], s[76:77], v[35:36], v[35:36], 1.0
	v_div_scale_f64 v[51:52], vcc, 1.0, v[35:36], 1.0
	v_rcp_f64_e32 v[39:40], v[37:38]
	v_fma_f64 v[47:48], -v[37:38], v[39:40], 1.0
	v_fma_f64 v[39:40], v[39:40], v[47:48], v[39:40]
	v_fma_f64 v[47:48], -v[37:38], v[39:40], 1.0
	v_fma_f64 v[39:40], v[39:40], v[47:48], v[39:40]
	v_mul_f64 v[47:48], v[51:52], v[39:40]
	v_fma_f64 v[37:38], -v[37:38], v[47:48], v[51:52]
	v_div_fmas_f64 v[37:38], v[37:38], v[39:40], v[47:48]
	v_div_fixup_f64 v[47:48], v[37:38], v[35:36], 1.0
	v_mul_f64 v[37:38], v[12:13], v[47:48]
.LBB12_76:                              ;   in Loop: Header=BB12_55 Depth=2
	s_or_b64 exec, exec, s[74:75]
.LBB12_77:                              ;   in Loop: Header=BB12_55 Depth=2
	s_or_b64 exec, exec, s[72:73]
.LBB12_78:                              ;   in Loop: Header=BB12_55 Depth=2
	s_or_b64 exec, exec, s[6:7]
	global_load_dwordx2 v[12:13], v[41:42], off offset:-8
	v_add_f64 v[35:36], v[37:38], v[37:38]
	v_mov_b32_e32 v1, s92
	v_add_co_u32_e32 v43, vcc, s91, v43
	v_addc_co_u32_e32 v44, vcc, v1, v44, vcc
	v_add_co_u32_e32 v1, vcc, -8, v43
	v_addc_co_u32_e32 v14, vcc, -1, v44, vcc
	v_mov_b32_e32 v7, s47
	v_add_u32_e32 v51, -1, v0
	s_waitcnt vmcnt(0)
	v_add_f64 v[12:13], v[12:13], -v[45:46]
	v_mul_f64 v[12:13], v[47:48], v[12:13]
	v_fma_f64 v[12:13], v[49:50], v[35:36], -v[12:13]
	v_mul_f64 v[39:40], v[12:13], -v[47:48]
	v_fma_f64 v[45:46], v[12:13], -v[47:48], v[45:46]
	v_fma_f64 v[35:36], v[37:38], v[12:13], -v[49:50]
	v_add_co_u32_e32 v12, vcc, s46, v1
	v_addc_co_u32_e32 v13, vcc, v14, v7, vcc
	v_cmp_gt_i32_e32 vcc, v51, v32
	ds_write_b64 v6, v[39:40]
	global_store_dwordx2 v[41:42], v[45:46], off
	global_store_dwordx2 v[43:44], v[37:38], off offset:-8
	global_store_dwordx2 v[12:13], v[47:48], off offset:-8
	s_and_saveexec_b64 s[72:73], vcc
	s_cbranch_execz .LBB12_95
; %bb.79:                               ;   in Loop: Header=BB12_55 Depth=2
	v_ashrrev_i32_e32 v52, 31, v51
	v_lshlrev_b64 v[41:42], 3, v[51:52]
	v_readlane_b32 s80, v62, 4
	v_readlane_b32 s82, v62, 2
	v_xor_b32_e32 v48, 0x80000000, v48
	s_mov_b32 s39, -1
	s_mov_b64 s[74:75], 0
	s_mov_b64 s[76:77], s[52:53]
	;; [unrolled: 1-line block ×3, first 2 shown]
	v_readlane_b32 s81, v62, 5
	v_readlane_b32 s83, v62, 3
	s_branch .LBB12_81
.LBB12_80:                              ;   in Loop: Header=BB12_81 Depth=3
	v_mov_b32_e32 v1, s79
	v_add_co_u32_e32 v12, vcc, s78, v41
	v_addc_co_u32_e32 v13, vcc, v1, v42, vcc
	global_load_dwordx4 v[45:48], v[12:13], off offset:-8
	v_mul_f64 v[35:36], v[37:38], v[43:44]
	v_add_f64 v[37:38], v[49:50], v[49:50]
	v_add_co_u32_e32 v43, vcc, s82, v41
	s_add_u32 s82, s82, -8
	v_mov_b32_e32 v7, s83
	s_addc_u32 s83, s83, -1
	v_mov_b32_e32 v1, s81
	v_addc_co_u32_e32 v44, vcc, v7, v42, vcc
	s_waitcnt vmcnt(0)
	v_add_f64 v[14:15], v[47:48], -v[39:40]
	v_xor_b32_e32 v48, 0x80000000, v52
	v_mov_b32_e32 v47, v51
	v_add_f64 v[20:21], v[45:46], -v[14:15]
	v_add_co_u32_e64 v45, s[6:7], s80, v41
	s_add_u32 s80, s80, -8
	s_addc_u32 s81, s81, -1
	s_add_i32 s39, s39, -1
	s_add_u32 s78, s78, -8
	s_addc_u32 s79, s79, -1
	v_mul_f64 v[20:21], v[51:52], v[20:21]
	v_addc_co_u32_e64 v46, s[6:7], v1, v42, s[6:7]
	v_add_u32_e32 v1, s39, v0
	s_add_u32 s76, s76, -8
	v_cmp_le_i32_e32 vcc, v1, v32
	s_addc_u32 s77, s77, -1
	s_or_b64 s[74:75], vcc, s[74:75]
	v_fma_f64 v[20:21], v[35:36], v[37:38], -v[20:21]
	v_mov_b32_e32 v37, v49
	v_mov_b32_e32 v38, v50
	v_fma_f64 v[14:15], v[20:21], -v[51:52], v[14:15]
	v_mul_f64 v[39:40], v[20:21], -v[51:52]
	v_fma_f64 v[35:36], v[49:50], v[20:21], -v[35:36]
	global_store_dwordx2 v[12:13], v[14:15], off
	global_store_dwordx2 v[45:46], v[49:50], off
	;; [unrolled: 1-line block ×3, first 2 shown]
	s_andn2_b64 exec, exec, s[74:75]
	s_cbranch_execz .LBB12_94
.LBB12_81:                              ;   Parent Loop BB12_7 Depth=1
                                        ;     Parent Loop BB12_55 Depth=2
                                        ; =>    This Inner Loop Header: Depth=3
	v_mov_b32_e32 v1, s77
	v_add_co_u32_e32 v45, vcc, s76, v41
	v_addc_co_u32_e32 v46, vcc, v1, v42, vcc
	global_load_dwordx2 v[43:44], v[45:46], off
	v_mov_b32_e32 v51, 0
	v_mov_b32_e32 v49, 0
	;; [unrolled: 1-line block ×4, first 2 shown]
	s_waitcnt vmcnt(0)
	v_mul_f64 v[47:48], v[47:48], v[43:44]
	v_cmp_neq_f64_e32 vcc, 0, v[47:48]
	s_and_saveexec_b64 s[6:7], vcc
	s_cbranch_execz .LBB12_91
; %bb.82:                               ;   in Loop: Header=BB12_81 Depth=3
	v_cmp_neq_f64_e32 vcc, 0, v[35:36]
	v_xor_b32_e32 v54, 0x80000000, v48
	v_mov_b32_e32 v53, v47
                                        ; implicit-def: $vgpr51_vgpr52
                                        ; implicit-def: $vgpr49_vgpr50
	s_and_saveexec_b64 s[84:85], vcc
	s_xor_b64 s[84:85], exec, s[84:85]
	s_cbranch_execz .LBB12_88
; %bb.83:                               ;   in Loop: Header=BB12_81 Depth=3
	v_cmp_ngt_f64_e64 s[86:87], |v[47:48]|, |v[35:36]|
                                        ; implicit-def: $vgpr51_vgpr52
                                        ; implicit-def: $vgpr49_vgpr50
	s_and_saveexec_b64 vcc, s[86:87]
	s_xor_b64 s[86:87], exec, vcc
	s_cbranch_execz .LBB12_85
; %bb.84:                               ;   in Loop: Header=BB12_81 Depth=3
	v_div_scale_f64 v[12:13], s[22:23], v[35:36], v[35:36], -v[47:48]
	v_rcp_f64_e32 v[14:15], v[12:13]
	v_fma_f64 v[20:21], -v[12:13], v[14:15], 1.0
	v_fma_f64 v[14:15], v[14:15], v[20:21], v[14:15]
	v_div_scale_f64 v[20:21], vcc, -v[47:48], v[35:36], -v[47:48]
	v_fma_f64 v[49:50], -v[12:13], v[14:15], 1.0
	v_fma_f64 v[14:15], v[14:15], v[49:50], v[14:15]
	v_mul_f64 v[49:50], v[20:21], v[14:15]
	v_fma_f64 v[12:13], -v[12:13], v[49:50], v[20:21]
	v_div_fmas_f64 v[12:13], v[12:13], v[14:15], v[49:50]
	v_div_fixup_f64 v[12:13], v[12:13], v[35:36], -v[47:48]
	v_fma_f64 v[14:15], v[12:13], v[12:13], 1.0
	v_cmp_gt_f64_e32 vcc, s[60:61], v[14:15]
	v_cndmask_b32_e32 v1, 0, v57, vcc
	v_ldexp_f64 v[14:15], v[14:15], v1
	v_cndmask_b32_e32 v1, 0, v58, vcc
	v_rsq_f64_e32 v[20:21], v[14:15]
	v_cmp_class_f64_e32 vcc, v[14:15], v56
	v_mul_f64 v[49:50], v[14:15], v[20:21]
	v_mul_f64 v[20:21], v[20:21], 0.5
	v_fma_f64 v[51:52], -v[20:21], v[49:50], 0.5
	v_fma_f64 v[49:50], v[49:50], v[51:52], v[49:50]
	v_fma_f64 v[20:21], v[20:21], v[51:52], v[20:21]
	v_fma_f64 v[51:52], -v[49:50], v[49:50], v[14:15]
	v_fma_f64 v[49:50], v[51:52], v[20:21], v[49:50]
	v_fma_f64 v[51:52], -v[49:50], v[49:50], v[14:15]
	v_fma_f64 v[20:21], v[51:52], v[20:21], v[49:50]
	v_ldexp_f64 v[20:21], v[20:21], v1
	v_cndmask_b32_e32 v15, v21, v15, vcc
	v_cndmask_b32_e32 v14, v20, v14, vcc
	v_div_scale_f64 v[20:21], s[22:23], v[14:15], v[14:15], 1.0
	v_div_scale_f64 v[53:54], vcc, 1.0, v[14:15], 1.0
	v_rcp_f64_e32 v[49:50], v[20:21]
	v_fma_f64 v[51:52], -v[20:21], v[49:50], 1.0
	v_fma_f64 v[49:50], v[49:50], v[51:52], v[49:50]
	v_fma_f64 v[51:52], -v[20:21], v[49:50], 1.0
	v_fma_f64 v[49:50], v[49:50], v[51:52], v[49:50]
	v_mul_f64 v[51:52], v[53:54], v[49:50]
	v_fma_f64 v[20:21], -v[20:21], v[51:52], v[53:54]
	v_div_fmas_f64 v[20:21], v[20:21], v[49:50], v[51:52]
	v_div_fixup_f64 v[49:50], v[20:21], v[14:15], 1.0
	v_mul_f64 v[51:52], v[12:13], v[49:50]
.LBB12_85:                              ;   in Loop: Header=BB12_81 Depth=3
	s_andn2_saveexec_b64 s[86:87], s[86:87]
	s_cbranch_execz .LBB12_87
; %bb.86:                               ;   in Loop: Header=BB12_81 Depth=3
	v_div_scale_f64 v[12:13], s[22:23], v[47:48], v[47:48], -v[35:36]
	v_rcp_f64_e32 v[49:50], v[12:13]
	v_fma_f64 v[51:52], -v[12:13], v[49:50], 1.0
	v_fma_f64 v[49:50], v[49:50], v[51:52], v[49:50]
	v_div_scale_f64 v[51:52], vcc, -v[35:36], v[47:48], -v[35:36]
	v_fma_f64 v[53:54], -v[12:13], v[49:50], 1.0
	v_fma_f64 v[49:50], v[49:50], v[53:54], v[49:50]
	v_mul_f64 v[53:54], v[51:52], v[49:50]
	v_fma_f64 v[12:13], -v[12:13], v[53:54], v[51:52]
	v_div_fmas_f64 v[12:13], v[12:13], v[49:50], v[53:54]
	v_div_fixup_f64 v[12:13], v[12:13], v[47:48], -v[35:36]
	v_fma_f64 v[49:50], v[12:13], v[12:13], 1.0
	v_cmp_gt_f64_e32 vcc, s[60:61], v[49:50]
	v_cndmask_b32_e32 v1, 0, v57, vcc
	v_ldexp_f64 v[49:50], v[49:50], v1
	v_cndmask_b32_e32 v1, 0, v58, vcc
	v_rsq_f64_e32 v[51:52], v[49:50]
	v_cmp_class_f64_e32 vcc, v[49:50], v56
	v_mul_f64 v[53:54], v[49:50], v[51:52]
	v_mul_f64 v[51:52], v[51:52], 0.5
	v_fma_f64 v[14:15], -v[51:52], v[53:54], 0.5
	v_fma_f64 v[53:54], v[53:54], v[14:15], v[53:54]
	v_fma_f64 v[14:15], v[51:52], v[14:15], v[51:52]
	v_fma_f64 v[51:52], -v[53:54], v[53:54], v[49:50]
	v_fma_f64 v[51:52], v[51:52], v[14:15], v[53:54]
	v_fma_f64 v[53:54], -v[51:52], v[51:52], v[49:50]
	v_fma_f64 v[14:15], v[53:54], v[14:15], v[51:52]
	v_ldexp_f64 v[14:15], v[14:15], v1
	v_cndmask_b32_e32 v15, v15, v50, vcc
	v_cndmask_b32_e32 v14, v14, v49, vcc
	v_div_scale_f64 v[49:50], s[22:23], v[14:15], v[14:15], 1.0
	v_div_scale_f64 v[20:21], vcc, 1.0, v[14:15], 1.0
	v_rcp_f64_e32 v[51:52], v[49:50]
	v_fma_f64 v[53:54], -v[49:50], v[51:52], 1.0
	v_fma_f64 v[51:52], v[51:52], v[53:54], v[51:52]
	v_fma_f64 v[53:54], -v[49:50], v[51:52], 1.0
	v_fma_f64 v[51:52], v[51:52], v[53:54], v[51:52]
	v_mul_f64 v[53:54], v[20:21], v[51:52]
	v_fma_f64 v[20:21], -v[49:50], v[53:54], v[20:21]
	v_div_fmas_f64 v[20:21], v[20:21], v[51:52], v[53:54]
	v_div_fixup_f64 v[51:52], v[20:21], v[14:15], 1.0
	v_mul_f64 v[49:50], v[12:13], v[51:52]
.LBB12_87:                              ;   in Loop: Header=BB12_81 Depth=3
	s_or_b64 exec, exec, s[86:87]
	v_mul_f64 v[12:13], v[47:48], v[51:52]
	v_fma_f64 v[53:54], v[35:36], v[49:50], -v[12:13]
.LBB12_88:                              ;   in Loop: Header=BB12_81 Depth=3
	s_andn2_saveexec_b64 s[84:85], s[84:85]
; %bb.89:                               ;   in Loop: Header=BB12_81 Depth=3
	v_mov_b32_e32 v49, 0
	v_mov_b32_e32 v51, 0
	;; [unrolled: 1-line block ×4, first 2 shown]
; %bb.90:                               ;   in Loop: Header=BB12_81 Depth=3
	s_or_b64 exec, exec, s[84:85]
	v_mov_b32_e32 v35, v53
	v_mov_b32_e32 v36, v54
.LBB12_91:                              ;   in Loop: Header=BB12_81 Depth=3
	s_or_b64 exec, exec, s[6:7]
	s_cmp_eq_u32 s39, 0
	s_cbranch_scc1 .LBB12_80
; %bb.92:                               ;   in Loop: Header=BB12_81 Depth=3
	global_store_dwordx2 v[45:46], v[35:36], off offset:8
	s_branch .LBB12_80
.LBB12_93:                              ;   in Loop: Header=BB12_55 Depth=2
	ds_write2_b32 v6, v0, v32 offset0:5 offset1:7
	s_cbranch_execz .LBB12_66
	s_branch .LBB12_67
.LBB12_94:                              ;   in Loop: Header=BB12_55 Depth=2
	s_or_b64 exec, exec, s[74:75]
	s_mov_b32 s80, 0x667f3bcd
	s_mov_b32 s81, 0x3ff6a09e
	ds_write_b64 v6, v[39:40]
.LBB12_95:                              ;   in Loop: Header=BB12_55 Depth=2
	s_or_b64 exec, exec, s[72:73]
	global_load_dwordx2 v[47:48], v[33:34], off
.LBB12_96:                              ;   in Loop: Header=BB12_55 Depth=2
	s_or_b64 exec, exec, s[70:71]
	s_waitcnt vmcnt(0)
	v_add_f64 v[0:1], v[47:48], -v[39:40]
                                        ; implicit-def: $vgpr32
                                        ; implicit-def: $vgpr47_vgpr48
	global_store_dwordx2 v[33:34], v[0:1], off
	global_store_dwordx2 v[2:3], v[35:36], off
                                        ; implicit-def: $vgpr35_vgpr36
                                        ; implicit-def: $vgpr33_vgpr34
.LBB12_97:                              ;   in Loop: Header=BB12_55 Depth=2
	s_andn2_saveexec_b64 s[68:69], s[68:69]
	s_cbranch_execz .LBB12_130
; %bb.98:                               ;   in Loop: Header=BB12_55 Depth=2
	v_mov_b32_e32 v0, s88
	v_add_co_u32_e32 v37, vcc, s10, v35
	v_addc_co_u32_e32 v38, vcc, v0, v36, vcc
	global_load_dwordx2 v[0:1], v[33:34], off offset:8
	global_load_dwordx2 v[43:44], v[37:38], off
                                        ; implicit-def: $vgpr45_vgpr46
	s_waitcnt vmcnt(1)
	v_add_f64 v[41:42], v[47:48], -v[0:1]
	s_waitcnt vmcnt(0)
	v_add_f64 v[39:40], v[43:44], v[43:44]
	v_cmp_ngt_f64_e64 s[6:7], |v[41:42]|, |v[39:40]|
	s_and_saveexec_b64 s[70:71], s[6:7]
	s_xor_b64 s[6:7], exec, s[70:71]
	s_cbranch_execz .LBB12_104
; %bb.99:                               ;   in Loop: Header=BB12_55 Depth=2
	v_cmp_nlt_f64_e64 s[70:71], |v[41:42]|, |v[39:40]|
                                        ; implicit-def: $vgpr45_vgpr46
	s_and_saveexec_b64 s[72:73], s[70:71]
	s_xor_b64 s[70:71], exec, s[72:73]
; %bb.100:                              ;   in Loop: Header=BB12_55 Depth=2
	v_mul_f64 v[45:46], |v[39:40]|, s[80:81]
; %bb.101:                              ;   in Loop: Header=BB12_55 Depth=2
	s_andn2_saveexec_b64 s[70:71], s[70:71]
	s_cbranch_execz .LBB12_103
; %bb.102:                              ;   in Loop: Header=BB12_55 Depth=2
	v_and_b32_e32 v3, 0x7fffffff, v42
	v_mov_b32_e32 v2, v41
	v_and_b32_e32 v46, 0x7fffffff, v40
	v_mov_b32_e32 v45, v39
	v_div_scale_f64 v[49:50], s[72:73], v[45:46], v[45:46], v[2:3]
	v_div_scale_f64 v[2:3], vcc, v[2:3], v[45:46], v[2:3]
	v_rcp_f64_e32 v[51:52], v[49:50]
	v_fma_f64 v[53:54], -v[49:50], v[51:52], 1.0
	v_fma_f64 v[51:52], v[51:52], v[53:54], v[51:52]
	v_fma_f64 v[45:46], -v[49:50], v[51:52], 1.0
	v_fma_f64 v[45:46], v[51:52], v[45:46], v[51:52]
	v_mul_f64 v[51:52], v[2:3], v[45:46]
	v_fma_f64 v[2:3], -v[49:50], v[51:52], v[2:3]
	v_div_fmas_f64 v[2:3], v[2:3], v[45:46], v[51:52]
	v_div_fixup_f64 v[2:3], v[2:3], |v[39:40]|, |v[41:42]|
	v_fma_f64 v[2:3], v[2:3], v[2:3], 1.0
	v_cmp_gt_f64_e32 vcc, s[60:61], v[2:3]
	v_cndmask_b32_e32 v7, 0, v57, vcc
	v_ldexp_f64 v[2:3], v[2:3], v7
	v_cndmask_b32_e32 v7, 0, v58, vcc
	v_rsq_f64_e32 v[45:46], v[2:3]
	v_cmp_class_f64_e32 vcc, v[2:3], v56
	v_mul_f64 v[49:50], v[2:3], v[45:46]
	v_mul_f64 v[45:46], v[45:46], 0.5
	v_fma_f64 v[51:52], -v[45:46], v[49:50], 0.5
	v_fma_f64 v[49:50], v[49:50], v[51:52], v[49:50]
	v_fma_f64 v[45:46], v[45:46], v[51:52], v[45:46]
	v_fma_f64 v[51:52], -v[49:50], v[49:50], v[2:3]
	v_fma_f64 v[49:50], v[51:52], v[45:46], v[49:50]
	v_fma_f64 v[51:52], -v[49:50], v[49:50], v[2:3]
	v_fma_f64 v[45:46], v[51:52], v[45:46], v[49:50]
	v_ldexp_f64 v[45:46], v[45:46], v7
	v_cndmask_b32_e32 v3, v46, v3, vcc
	v_cndmask_b32_e32 v2, v45, v2, vcc
	v_mul_f64 v[45:46], |v[39:40]|, v[2:3]
.LBB12_103:                             ;   in Loop: Header=BB12_55 Depth=2
	s_or_b64 exec, exec, s[70:71]
.LBB12_104:                             ;   in Loop: Header=BB12_55 Depth=2
	s_andn2_saveexec_b64 s[6:7], s[6:7]
	s_cbranch_execz .LBB12_106
; %bb.105:                              ;   in Loop: Header=BB12_55 Depth=2
	v_and_b32_e32 v3, 0x7fffffff, v40
	v_mov_b32_e32 v2, v39
	v_and_b32_e32 v46, 0x7fffffff, v42
	v_mov_b32_e32 v45, v41
	v_div_scale_f64 v[49:50], s[70:71], v[45:46], v[45:46], v[2:3]
	v_div_scale_f64 v[2:3], vcc, v[2:3], v[45:46], v[2:3]
	v_rcp_f64_e32 v[51:52], v[49:50]
	v_fma_f64 v[53:54], -v[49:50], v[51:52], 1.0
	v_fma_f64 v[51:52], v[51:52], v[53:54], v[51:52]
	v_fma_f64 v[45:46], -v[49:50], v[51:52], 1.0
	v_fma_f64 v[45:46], v[51:52], v[45:46], v[51:52]
	v_mul_f64 v[51:52], v[2:3], v[45:46]
	v_fma_f64 v[2:3], -v[49:50], v[51:52], v[2:3]
	v_div_fmas_f64 v[2:3], v[2:3], v[45:46], v[51:52]
	v_div_fixup_f64 v[2:3], v[2:3], |v[41:42]|, |v[39:40]|
	v_fma_f64 v[2:3], v[2:3], v[2:3], 1.0
	v_cmp_gt_f64_e32 vcc, s[60:61], v[2:3]
	v_cndmask_b32_e32 v7, 0, v57, vcc
	v_ldexp_f64 v[2:3], v[2:3], v7
	v_cndmask_b32_e32 v7, 0, v58, vcc
	v_rsq_f64_e32 v[45:46], v[2:3]
	v_cmp_class_f64_e32 vcc, v[2:3], v56
	v_mul_f64 v[49:50], v[2:3], v[45:46]
	v_mul_f64 v[45:46], v[45:46], 0.5
	v_fma_f64 v[51:52], -v[45:46], v[49:50], 0.5
	v_fma_f64 v[49:50], v[49:50], v[51:52], v[49:50]
	v_fma_f64 v[45:46], v[45:46], v[51:52], v[45:46]
	v_fma_f64 v[51:52], -v[49:50], v[49:50], v[2:3]
	v_fma_f64 v[49:50], v[51:52], v[45:46], v[49:50]
	v_fma_f64 v[51:52], -v[49:50], v[49:50], v[2:3]
	v_fma_f64 v[45:46], v[51:52], v[45:46], v[49:50]
	v_ldexp_f64 v[45:46], v[45:46], v7
	v_cndmask_b32_e32 v3, v46, v3, vcc
	v_cndmask_b32_e32 v2, v45, v2, vcc
	v_mul_f64 v[45:46], |v[41:42]|, v[2:3]
.LBB12_106:                             ;   in Loop: Header=BB12_55 Depth=2
	s_or_b64 exec, exec, s[6:7]
	v_add_f64 v[51:52], v[47:48], v[0:1]
	v_cmp_gt_f64_e64 vcc, |v[47:48]|, |v[0:1]|
	v_cmp_ngt_f64_e64 s[6:7], 0, v[51:52]
	v_cndmask_b32_e32 v50, v48, v1, vcc
	v_cndmask_b32_e32 v49, v47, v0, vcc
	;; [unrolled: 1-line block ×4, first 2 shown]
                                        ; implicit-def: $vgpr2_vgpr3
	s_and_saveexec_b64 s[70:71], s[6:7]
	s_xor_b64 s[6:7], exec, s[70:71]
	s_cbranch_execz .LBB12_112
; %bb.107:                              ;   in Loop: Header=BB12_55 Depth=2
	v_cmp_nlt_f64_e32 vcc, 0, v[51:52]
                                        ; implicit-def: $vgpr2_vgpr3
	s_and_saveexec_b64 s[70:71], vcc
	s_xor_b64 s[70:71], exec, s[70:71]
	s_cbranch_execz .LBB12_109
; %bb.108:                              ;   in Loop: Header=BB12_55 Depth=2
	v_mul_f64 v[0:1], v[45:46], 0.5
	v_mul_f64 v[2:3], v[45:46], -0.5
                                        ; implicit-def: $vgpr51_vgpr52
                                        ; implicit-def: $vgpr47_vgpr48
                                        ; implicit-def: $vgpr43_vgpr44
                                        ; implicit-def: $vgpr49_vgpr50
.LBB12_109:                             ;   in Loop: Header=BB12_55 Depth=2
	s_andn2_saveexec_b64 s[70:71], s[70:71]
	s_cbranch_execz .LBB12_111
; %bb.110:                              ;   in Loop: Header=BB12_55 Depth=2
	v_add_f64 v[0:1], v[51:52], v[45:46]
	v_mul_f64 v[0:1], v[0:1], 0.5
	v_div_scale_f64 v[2:3], s[72:73], v[0:1], v[0:1], v[47:48]
	v_rcp_f64_e32 v[12:13], v[2:3]
	v_fma_f64 v[51:52], -v[2:3], v[12:13], 1.0
	v_fma_f64 v[12:13], v[12:13], v[51:52], v[12:13]
	v_fma_f64 v[51:52], -v[2:3], v[12:13], 1.0
	v_fma_f64 v[12:13], v[12:13], v[51:52], v[12:13]
	v_div_scale_f64 v[51:52], vcc, v[47:48], v[0:1], v[47:48]
	v_mul_f64 v[53:54], v[51:52], v[12:13]
	v_fma_f64 v[2:3], -v[2:3], v[53:54], v[51:52]
	s_nop 1
	v_div_fmas_f64 v[2:3], v[2:3], v[12:13], v[53:54]
	v_div_scale_f64 v[12:13], s[72:73], v[0:1], v[0:1], v[43:44]
	v_div_fixup_f64 v[2:3], v[2:3], v[0:1], v[47:48]
	v_rcp_f64_e32 v[47:48], v[12:13]
	v_fma_f64 v[51:52], -v[12:13], v[47:48], 1.0
	v_fma_f64 v[47:48], v[47:48], v[51:52], v[47:48]
	v_fma_f64 v[51:52], -v[12:13], v[47:48], 1.0
	v_fma_f64 v[47:48], v[47:48], v[51:52], v[47:48]
	v_div_scale_f64 v[51:52], vcc, v[43:44], v[0:1], v[43:44]
	v_mul_f64 v[53:54], v[51:52], v[47:48]
	v_fma_f64 v[12:13], -v[12:13], v[53:54], v[51:52]
	s_nop 1
	v_div_fmas_f64 v[12:13], v[12:13], v[47:48], v[53:54]
	v_div_fixup_f64 v[12:13], v[12:13], v[0:1], v[43:44]
	v_mul_f64 v[12:13], v[43:44], v[12:13]
	v_fma_f64 v[2:3], v[49:50], v[2:3], -v[12:13]
.LBB12_111:                             ;   in Loop: Header=BB12_55 Depth=2
	s_or_b64 exec, exec, s[70:71]
                                        ; implicit-def: $vgpr51_vgpr52
                                        ; implicit-def: $vgpr47_vgpr48
                                        ; implicit-def: $vgpr43_vgpr44
                                        ; implicit-def: $vgpr49_vgpr50
.LBB12_112:                             ;   in Loop: Header=BB12_55 Depth=2
	s_or_saveexec_b64 s[6:7], s[6:7]
	v_mov_b32_e32 v7, 1
	s_xor_b64 exec, exec, s[6:7]
	s_cbranch_execz .LBB12_114
; %bb.113:                              ;   in Loop: Header=BB12_55 Depth=2
	v_add_f64 v[0:1], v[51:52], -v[45:46]
	v_mov_b32_e32 v7, -1
	v_mul_f64 v[0:1], v[0:1], 0.5
	v_div_scale_f64 v[2:3], s[70:71], v[0:1], v[0:1], v[47:48]
	v_rcp_f64_e32 v[51:52], v[2:3]
	v_fma_f64 v[53:54], -v[2:3], v[51:52], 1.0
	v_fma_f64 v[51:52], v[51:52], v[53:54], v[51:52]
	v_fma_f64 v[53:54], -v[2:3], v[51:52], 1.0
	v_fma_f64 v[51:52], v[51:52], v[53:54], v[51:52]
	v_div_scale_f64 v[53:54], vcc, v[47:48], v[0:1], v[47:48]
	v_mul_f64 v[12:13], v[53:54], v[51:52]
	v_fma_f64 v[2:3], -v[2:3], v[12:13], v[53:54]
	s_nop 1
	v_div_fmas_f64 v[2:3], v[2:3], v[51:52], v[12:13]
	v_div_scale_f64 v[12:13], s[70:71], v[0:1], v[0:1], v[43:44]
	v_div_fixup_f64 v[2:3], v[2:3], v[0:1], v[47:48]
	v_rcp_f64_e32 v[47:48], v[12:13]
	v_fma_f64 v[51:52], -v[12:13], v[47:48], 1.0
	v_fma_f64 v[47:48], v[47:48], v[51:52], v[47:48]
	v_fma_f64 v[51:52], -v[12:13], v[47:48], 1.0
	v_fma_f64 v[47:48], v[47:48], v[51:52], v[47:48]
	v_div_scale_f64 v[51:52], vcc, v[43:44], v[0:1], v[43:44]
	v_mul_f64 v[53:54], v[51:52], v[47:48]
	v_fma_f64 v[12:13], -v[12:13], v[53:54], v[51:52]
	s_nop 1
	v_div_fmas_f64 v[12:13], v[12:13], v[47:48], v[53:54]
	v_div_fixup_f64 v[12:13], v[12:13], v[0:1], v[43:44]
	v_mul_f64 v[12:13], v[43:44], v[12:13]
	v_fma_f64 v[2:3], v[49:50], v[2:3], -v[12:13]
.LBB12_114:                             ;   in Loop: Header=BB12_55 Depth=2
	s_or_b64 exec, exec, s[6:7]
	v_cmp_nle_f64_e64 s[6:7], 0, v[41:42]
	v_xor_b32_e32 v12, 0x80000000, v46
                                        ; implicit-def: $vgpr43_vgpr44
	v_cndmask_b32_e64 v46, v46, v12, s[6:7]
	v_add_f64 v[41:42], v[41:42], v[45:46]
                                        ; implicit-def: $vgpr45_vgpr46
	v_cmp_ngt_f64_e64 s[70:71], |v[41:42]|, |v[39:40]|
	s_and_saveexec_b64 s[72:73], s[70:71]
	s_xor_b64 s[70:71], exec, s[72:73]
	s_cbranch_execz .LBB12_118
; %bb.115:                              ;   in Loop: Header=BB12_55 Depth=2
	v_cmp_neq_f64_e32 vcc, 0, v[39:40]
	v_mov_b32_e32 v43, 0
	v_mov_b32_e32 v45, 0
	v_mov_b32_e32 v44, 0
	v_mov_b32_e32 v46, 0x3ff00000
	s_and_saveexec_b64 s[72:73], vcc
	s_cbranch_execz .LBB12_117
; %bb.116:                              ;   in Loop: Header=BB12_55 Depth=2
	v_div_scale_f64 v[12:13], s[74:75], v[39:40], v[39:40], -v[41:42]
	v_rcp_f64_e32 v[43:44], v[12:13]
	v_fma_f64 v[45:46], -v[12:13], v[43:44], 1.0
	v_fma_f64 v[43:44], v[43:44], v[45:46], v[43:44]
	v_div_scale_f64 v[45:46], vcc, -v[41:42], v[39:40], -v[41:42]
	v_fma_f64 v[47:48], -v[12:13], v[43:44], 1.0
	v_fma_f64 v[43:44], v[43:44], v[47:48], v[43:44]
	v_mul_f64 v[47:48], v[45:46], v[43:44]
	v_fma_f64 v[12:13], -v[12:13], v[47:48], v[45:46]
	v_div_fmas_f64 v[12:13], v[12:13], v[43:44], v[47:48]
	v_div_fixup_f64 v[12:13], v[12:13], v[39:40], -v[41:42]
	v_fma_f64 v[39:40], v[12:13], v[12:13], 1.0
	v_cmp_gt_f64_e32 vcc, s[60:61], v[39:40]
	v_cndmask_b32_e32 v14, 0, v57, vcc
	v_ldexp_f64 v[39:40], v[39:40], v14
	v_cndmask_b32_e32 v14, 0, v58, vcc
	v_rsq_f64_e32 v[41:42], v[39:40]
	v_cmp_class_f64_e32 vcc, v[39:40], v56
	v_mul_f64 v[43:44], v[39:40], v[41:42]
	v_mul_f64 v[41:42], v[41:42], 0.5
	v_fma_f64 v[45:46], -v[41:42], v[43:44], 0.5
	v_fma_f64 v[43:44], v[43:44], v[45:46], v[43:44]
	v_fma_f64 v[41:42], v[41:42], v[45:46], v[41:42]
	v_fma_f64 v[45:46], -v[43:44], v[43:44], v[39:40]
	v_fma_f64 v[43:44], v[45:46], v[41:42], v[43:44]
	v_fma_f64 v[45:46], -v[43:44], v[43:44], v[39:40]
	v_fma_f64 v[41:42], v[45:46], v[41:42], v[43:44]
	v_ldexp_f64 v[41:42], v[41:42], v14
	v_cndmask_b32_e32 v40, v42, v40, vcc
	v_cndmask_b32_e32 v39, v41, v39, vcc
	v_div_scale_f64 v[41:42], s[74:75], v[39:40], v[39:40], 1.0
	v_div_scale_f64 v[47:48], vcc, 1.0, v[39:40], 1.0
	v_rcp_f64_e32 v[43:44], v[41:42]
	v_fma_f64 v[45:46], -v[41:42], v[43:44], 1.0
	v_fma_f64 v[43:44], v[43:44], v[45:46], v[43:44]
	v_fma_f64 v[45:46], -v[41:42], v[43:44], 1.0
	v_fma_f64 v[43:44], v[43:44], v[45:46], v[43:44]
	v_mul_f64 v[45:46], v[47:48], v[43:44]
	v_fma_f64 v[41:42], -v[41:42], v[45:46], v[47:48]
	v_div_fmas_f64 v[41:42], v[41:42], v[43:44], v[45:46]
	v_div_fixup_f64 v[45:46], v[41:42], v[39:40], 1.0
	v_mul_f64 v[43:44], v[12:13], v[45:46]
.LBB12_117:                             ;   in Loop: Header=BB12_55 Depth=2
	s_or_b64 exec, exec, s[72:73]
                                        ; implicit-def: $vgpr41_vgpr42
                                        ; implicit-def: $vgpr39_vgpr40
.LBB12_118:                             ;   in Loop: Header=BB12_55 Depth=2
	s_andn2_saveexec_b64 s[70:71], s[70:71]
	s_cbranch_execz .LBB12_120
; %bb.119:                              ;   in Loop: Header=BB12_55 Depth=2
	v_div_scale_f64 v[12:13], s[72:73], v[41:42], v[41:42], -v[39:40]
	v_rcp_f64_e32 v[43:44], v[12:13]
	v_fma_f64 v[45:46], -v[12:13], v[43:44], 1.0
	v_fma_f64 v[43:44], v[43:44], v[45:46], v[43:44]
	v_div_scale_f64 v[45:46], vcc, -v[39:40], v[41:42], -v[39:40]
	v_fma_f64 v[47:48], -v[12:13], v[43:44], 1.0
	v_fma_f64 v[43:44], v[43:44], v[47:48], v[43:44]
	v_mul_f64 v[47:48], v[45:46], v[43:44]
	v_fma_f64 v[12:13], -v[12:13], v[47:48], v[45:46]
	v_div_fmas_f64 v[12:13], v[12:13], v[43:44], v[47:48]
	v_div_fixup_f64 v[12:13], v[12:13], v[41:42], -v[39:40]
	v_fma_f64 v[39:40], v[12:13], v[12:13], 1.0
	v_cmp_gt_f64_e32 vcc, s[60:61], v[39:40]
	v_cndmask_b32_e32 v14, 0, v57, vcc
	v_ldexp_f64 v[39:40], v[39:40], v14
	v_cndmask_b32_e32 v14, 0, v58, vcc
	v_rsq_f64_e32 v[41:42], v[39:40]
	v_cmp_class_f64_e32 vcc, v[39:40], v56
	v_mul_f64 v[43:44], v[39:40], v[41:42]
	v_mul_f64 v[41:42], v[41:42], 0.5
	v_fma_f64 v[45:46], -v[41:42], v[43:44], 0.5
	v_fma_f64 v[43:44], v[43:44], v[45:46], v[43:44]
	v_fma_f64 v[41:42], v[41:42], v[45:46], v[41:42]
	v_fma_f64 v[45:46], -v[43:44], v[43:44], v[39:40]
	v_fma_f64 v[43:44], v[45:46], v[41:42], v[43:44]
	v_fma_f64 v[45:46], -v[43:44], v[43:44], v[39:40]
	v_fma_f64 v[41:42], v[45:46], v[41:42], v[43:44]
	v_ldexp_f64 v[41:42], v[41:42], v14
	v_cndmask_b32_e32 v40, v42, v40, vcc
	v_cndmask_b32_e32 v39, v41, v39, vcc
	v_div_scale_f64 v[41:42], s[72:73], v[39:40], v[39:40], 1.0
	v_div_scale_f64 v[47:48], vcc, 1.0, v[39:40], 1.0
	v_rcp_f64_e32 v[43:44], v[41:42]
	v_fma_f64 v[45:46], -v[41:42], v[43:44], 1.0
	v_fma_f64 v[43:44], v[43:44], v[45:46], v[43:44]
	v_fma_f64 v[45:46], -v[41:42], v[43:44], 1.0
	v_fma_f64 v[43:44], v[43:44], v[45:46], v[43:44]
	v_mul_f64 v[45:46], v[47:48], v[43:44]
	v_fma_f64 v[41:42], -v[41:42], v[45:46], v[47:48]
	v_div_fmas_f64 v[41:42], v[41:42], v[43:44], v[45:46]
	v_div_fixup_f64 v[43:44], v[41:42], v[39:40], 1.0
	v_mul_f64 v[45:46], v[12:13], v[43:44]
.LBB12_120:                             ;   in Loop: Header=BB12_55 Depth=2
	s_or_b64 exec, exec, s[70:71]
	v_cndmask_b32_e64 v12, 1, -1, s[6:7]
	v_xor_b32_e32 v14, 0x80000000, v44
	v_cmp_eq_u32_e32 vcc, v7, v12
	v_cndmask_b32_e32 v13, v44, v46, vcc
	v_cndmask_b32_e32 v12, v43, v45, vcc
	;; [unrolled: 1-line block ×4, first 2 shown]
	v_mov_b32_e32 v7, s92
	v_add_co_u32_e32 v35, vcc, s91, v35
	v_addc_co_u32_e32 v36, vcc, v7, v36, vcc
	global_store_dwordx2 v[35:36], v[39:40], off
	v_mov_b32_e32 v7, s47
	v_add_co_u32_e32 v35, vcc, s46, v35
	v_addc_co_u32_e32 v36, vcc, v36, v7, vcc
	global_store_dwordx2 v[35:36], v[12:13], off offset:-8
	global_store_dwordx4 v[33:34], v[0:3], off
	v_mov_b32_e32 v7, v6
	v_add_u32_e32 v0, 2, v32
	global_store_dwordx2 v[37:38], v[6:7], off
	ds_write_b32 v6, v0 offset:16
	s_or_b64 exec, exec, s[68:69]
                                        ; implicit-def: $vgpr1
.LBB12_121:                             ;   in Loop: Header=BB12_55 Depth=2
	s_andn2_saveexec_b64 s[6:7], s[66:67]
.LBB12_122:                             ;   in Loop: Header=BB12_55 Depth=2
	ds_write_b32 v6, v1 offset:16
.LBB12_123:                             ;   in Loop: Header=BB12_55 Depth=2
	s_or_b64 exec, exec, s[6:7]
.LBB12_124:                             ;   in Loop: Header=BB12_55 Depth=2
	s_or_b64 exec, exec, s[64:65]
	s_waitcnt vmcnt(0) lgkmcnt(0)
	s_barrier
	ds_read_b64 v[0:1], v6 offset:16
	s_waitcnt lgkmcnt(0)
	v_readfirstlane_b32 s6, v1
	v_cmp_eq_u32_e32 vcc, s6, v0
	v_mov_b32_e32 v32, s6
	s_cbranch_vccnz .LBB12_54
; %bb.125:                              ;   in Loop: Header=BB12_55 Depth=2
	s_and_saveexec_b64 s[64:65], s[2:3]
	s_cbranch_execz .LBB12_53
; %bb.126:                              ;   in Loop: Header=BB12_55 Depth=2
	ds_read_b32 v0, v6 offset:28
	s_mov_b64 s[68:69], 0
	v_mov_b32_e32 v32, v4
	s_waitcnt lgkmcnt(0)
	v_readfirstlane_b32 s7, v0
	s_mul_i32 s22, s7, s11
	s_ashr_i32 s23, s22, 31
	s_lshl_b64 s[22:23], s[22:23], 3
	s_add_u32 s39, s89, s22
	s_addc_u32 s51, s90, s23
	s_sub_i32 s70, s6, s7
	s_mul_hi_i32 s7, s70, s42
	s_mul_i32 s6, s70, s42
	s_lshl_b64 s[6:7], s[6:7], 3
	s_add_u32 s71, s39, s6
	s_addc_u32 s72, s51, s7
	v_ashrrev_i32_e32 v1, 31, v0
	s_cmp_gt_i32 s70, 0
	v_lshlrev_b64 v[0:1], 3, v[0:1]
	s_cselect_b64 s[66:67], -1, 0
	s_add_i32 s62, s70, -1
	s_lshl_b64 s[6:7], s[62:63], 3
	v_mov_b32_e32 v2, s7
	v_add_co_u32_e32 v0, vcc, s6, v0
	s_mul_i32 s6, s57, s62
	s_mul_hi_u32 s7, s56, s62
	v_addc_co_u32_e32 v1, vcc, v1, v2, vcc
	s_add_i32 s7, s7, s6
	s_mul_i32 s6, s56, s62
	v_mov_b32_e32 v2, s92
	v_add_co_u32_e32 v0, vcc, s91, v0
	s_add_u32 s6, s6, s22
	v_addc_co_u32_e32 v1, vcc, v2, v1, vcc
	s_addc_u32 s7, s7, s23
	v_mov_b32_e32 v3, s7
	v_add_co_u32_e32 v2, vcc, s6, v5
	v_addc_co_u32_e32 v3, vcc, v55, v3, vcc
	s_branch .LBB12_128
.LBB12_127:                             ;   in Loop: Header=BB12_128 Depth=3
	v_add_u32_e32 v32, s30, v32
	v_cmp_le_i32_e32 vcc, s28, v32
	v_mov_b32_e32 v7, s45
	s_or_b64 s[68:69], vcc, s[68:69]
	v_add_co_u32_e32 v2, vcc, s44, v2
	v_addc_co_u32_e32 v3, vcc, v3, v7, vcc
	s_waitcnt vmcnt(0)
	global_store_dwordx2 v[35:36], v[33:34], off
	s_andn2_b64 exec, exec, s[68:69]
	s_cbranch_execz .LBB12_53
.LBB12_128:                             ;   Parent Loop BB12_7 Depth=1
                                        ;     Parent Loop BB12_55 Depth=2
                                        ; =>    This Loop Header: Depth=3
                                        ;         Child Loop BB12_129 Depth 4
	v_ashrrev_i32_e32 v33, 31, v32
	v_lshlrev_b64 v[12:13], 3, v[32:33]
	v_mov_b32_e32 v7, s72
	v_add_co_u32_e32 v14, vcc, s71, v12
	v_addc_co_u32_e32 v15, vcc, v7, v13, vcc
	global_load_dwordx2 v[33:34], v[14:15], off
	v_mov_b32_e32 v7, s51
	v_add_co_u32_e32 v35, vcc, s39, v12
	v_addc_co_u32_e32 v36, vcc, v7, v13, vcc
	v_mov_b32_e32 v38, v3
	v_mov_b32_e32 v40, v1
	s_andn2_b64 vcc, exec, s[66:67]
	v_mov_b32_e32 v37, v2
	v_mov_b32_e32 v39, v0
	s_mov_b32 s6, s70
	s_cbranch_vccnz .LBB12_127
.LBB12_129:                             ;   Parent Loop BB12_7 Depth=1
                                        ;     Parent Loop BB12_55 Depth=2
                                        ;       Parent Loop BB12_128 Depth=3
                                        ; =>      This Inner Loop Header: Depth=4
	v_mov_b32_e32 v7, s31
	v_add_co_u32_e32 v14, vcc, s29, v39
	v_addc_co_u32_e32 v15, vcc, v40, v7, vcc
	global_load_dwordx2 v[12:13], v[37:38], off
	s_nop 0
	global_load_dwordx2 v[14:15], v[14:15], off
	s_nop 0
	global_load_dwordx2 v[20:21], v[39:40], off
	s_mul_i32 s23, s6, s43
	s_mul_hi_u32 s73, s6, s42
	s_add_i32 s62, s6, -1
	s_mul_i32 s22, s6, s42
	v_add_co_u32_e32 v39, vcc, -8, v39
	v_mov_b32_e32 v7, s48
	v_add_co_u32_e64 v37, s[6:7], s59, v37
	s_add_i32 s23, s73, s23
	v_addc_co_u32_e32 v40, vcc, -1, v40, vcc
	v_addc_co_u32_e64 v38, vcc, v38, v7, s[6:7]
	s_lshl_b64 s[22:23], s[22:23], 3
	v_mov_b32_e32 v7, s23
	s_mov_b32 s6, s62
	s_cmp_eq_u32 s62, 0
	s_waitcnt vmcnt(1)
	v_mul_f64 v[41:42], v[14:15], v[12:13]
	s_waitcnt vmcnt(0)
	v_mul_f64 v[12:13], v[20:21], v[12:13]
	v_fma_f64 v[20:21], v[33:34], v[20:21], -v[41:42]
	v_fma_f64 v[33:34], v[33:34], v[14:15], v[12:13]
	v_add_co_u32_e32 v12, vcc, s22, v35
	v_addc_co_u32_e32 v13, vcc, v36, v7, vcc
	global_store_dwordx2 v[12:13], v[20:21], off
	s_cbranch_scc0 .LBB12_129
	s_branch .LBB12_127
.LBB12_130:                             ;   in Loop: Header=BB12_55 Depth=2
	s_or_b64 exec, exec, s[68:69]
                                        ; implicit-def: $vgpr1
	s_andn2_saveexec_b64 s[6:7], s[66:67]
	s_cbranch_execnz .LBB12_122
	s_branch .LBB12_123
.LBB12_131:                             ;   in Loop: Header=BB12_133 Depth=2
	s_or_b64 exec, exec, s[4:5]
	s_waitcnt vmcnt(0)
	s_barrier
	ds_read_b32 v24, v6 offset:16
.LBB12_132:                             ;   in Loop: Header=BB12_133 Depth=2
	ds_read_b64 v[26:27], v6 offset:32
	s_waitcnt lgkmcnt(0)
	v_cmp_ge_i32_e32 vcc, v24, v26
	v_cmp_gt_i32_e64 s[4:5], s33, v27
	s_and_b64 s[4:5], vcc, s[4:5]
	s_andn2_b64 vcc, exec, s[4:5]
	s_cbranch_vccnz .LBB12_210
.LBB12_133:                             ;   Parent Loop BB12_7 Depth=1
                                        ; =>  This Loop Header: Depth=2
                                        ;       Child Loop BB12_139 Depth 3
                                        ;       Child Loop BB12_159 Depth 3
	;; [unrolled: 1-line block ×3, first 2 shown]
                                        ;         Child Loop BB12_207 Depth 4
	s_and_saveexec_b64 s[6:7], s[0:1]
	s_cbranch_execz .LBB12_202
; %bb.134:                              ;   in Loop: Header=BB12_133 Depth=2
	v_cmp_gt_i32_e32 vcc, v24, v26
	s_mov_b64 s[4:5], 0
	s_cbranch_vccnz .LBB12_136
; %bb.135:                              ;   in Loop: Header=BB12_133 Depth=2
	v_ashrrev_i32_e32 v25, 31, v24
	v_mov_b32_e32 v1, v24
	s_mov_b64 s[64:65], -1
	v_mov_b32_e32 v2, v25
	v_mov_b32_e32 v0, v24
	s_cbranch_execz .LBB12_137
	s_branch .LBB12_142
.LBB12_136:                             ;   in Loop: Header=BB12_133 Depth=2
                                        ; implicit-def: $vgpr1_vgpr2
	s_mov_b64 s[64:65], 0
	v_mov_b32_e32 v0, v24
.LBB12_137:                             ;   in Loop: Header=BB12_133 Depth=2
	v_ashrrev_i32_e32 v25, 31, v24
	v_lshlrev_b64 v[0:1], 3, v[24:25]
	v_mov_b32_e32 v2, s88
	v_add_co_u32_e32 v10, vcc, s10, v0
	v_addc_co_u32_e32 v11, vcc, v2, v1, vcc
	v_mov_b32_e32 v2, s50
	v_add_co_u32_e32 v0, vcc, s49, v0
	v_addc_co_u32_e32 v1, vcc, v2, v1, vcc
	v_mov_b32_e32 v2, v24
	s_branch .LBB12_139
.LBB12_138:                             ;   in Loop: Header=BB12_139 Depth=3
	v_add_u32_e32 v2, -1, v60
	v_add_co_u32_e32 v0, vcc, -8, v0
	v_addc_co_u32_e32 v1, vcc, -1, v1, vcc
	s_mov_b64 s[64:65], 0
	v_cmp_le_i32_e64 s[4:5], v2, v26
	s_andn2_b64 vcc, exec, s[4:5]
	v_add_co_u32_e64 v10, s[4:5], -8, v10
	v_addc_co_u32_e64 v11, s[4:5], -1, v11, s[4:5]
	s_cbranch_vccz .LBB12_141
.LBB12_139:                             ;   Parent Loop BB12_7 Depth=1
                                        ;     Parent Loop BB12_133 Depth=2
                                        ; =>    This Inner Loop Header: Depth=3
	global_load_dwordx4 v[28:31], v[0:1], off
	global_load_dwordx2 v[12:13], v[10:11], off offset:-8
	v_mov_b32_e32 v60, v2
	s_waitcnt vmcnt(1)
	v_mul_f64 v[14:15], v[30:31], v[28:29]
	s_waitcnt vmcnt(0)
	v_mul_f64 v[12:13], v[12:13], v[12:13]
	v_mul_f64 v[14:15], v[8:9], |v[14:15]|
	v_cmp_le_f64_e64 s[4:5], |v[12:13]|, v[14:15]
	s_and_b64 vcc, exec, s[4:5]
	s_cbranch_vccz .LBB12_138
; %bb.140:                              ;   in Loop: Header=BB12_133 Depth=2
	s_mov_b64 s[64:65], -1
                                        ; implicit-def: $vgpr2
                                        ; implicit-def: $vgpr0_vgpr1
	v_add_co_u32_e64 v10, s[4:5], -8, v10
	v_addc_co_u32_e64 v11, s[4:5], -1, v11, s[4:5]
.LBB12_141:                             ;   in Loop: Header=BB12_133 Depth=2
	v_mov_b32_e32 v16, v24
	v_mov_b32_e32 v1, v24
	s_xor_b64 s[64:65], s[64:65], -1
	s_mov_b64 s[4:5], -1
	v_mov_b32_e32 v17, v25
	v_mov_b32_e32 v0, v26
	v_mov_b32_e32 v2, v25
.LBB12_142:                             ;   in Loop: Header=BB12_133 Depth=2
	s_and_b64 vcc, exec, s[64:65]
	s_cbranch_vccnz .LBB12_171
; %bb.143:                              ;   in Loop: Header=BB12_133 Depth=2
	s_andn2_b64 vcc, exec, s[4:5]
	s_cbranch_vccnz .LBB12_145
.LBB12_144:                             ;   in Loop: Header=BB12_133 Depth=2
	v_mov_b32_e32 v1, v16
	v_mov_b32_e32 v7, v6
	;; [unrolled: 1-line block ×4, first 2 shown]
	ds_write2_b32 v6, v60, v24 offset0:5 offset1:7
	global_store_dwordx2 v[10:11], v[6:7], off
.LBB12_145:                             ;   in Loop: Header=BB12_133 Depth=2
	s_waitcnt vmcnt(0)
	v_lshlrev_b64 v[28:29], 3, v[1:2]
	v_mov_b32_e32 v1, s19
	v_add_co_u32_e32 v25, vcc, s18, v28
	v_addc_co_u32_e32 v26, vcc, v1, v29, vcc
	global_load_dwordx2 v[40:41], v[25:26], off
	v_cmp_ne_u32_e32 vcc, v0, v24
	v_add_u32_e32 v1, -1, v24
	s_waitcnt vmcnt(0)
	ds_write_b64 v6, v[40:41]
	s_and_saveexec_b64 s[4:5], vcc
	s_xor_b64 s[64:65], exec, s[4:5]
	s_cbranch_execz .LBB12_199
; %bb.146:                              ;   in Loop: Header=BB12_133 Depth=2
	v_cmp_ne_u32_e32 vcc, v0, v1
	s_and_saveexec_b64 s[4:5], vcc
	s_xor_b64 s[4:5], exec, s[4:5]
	s_cbranch_execz .LBB12_175
; %bb.147:                              ;   in Loop: Header=BB12_133 Depth=2
	v_mov_b32_e32 v1, s88
	v_add_co_u32_e32 v2, vcc, s10, v28
	v_addc_co_u32_e32 v3, vcc, v1, v29, vcc
	global_load_dwordx2 v[12:13], v[25:26], off offset:-8
	global_load_dwordx2 v[14:15], v[2:3], off offset:-8
	s_waitcnt vmcnt(1)
	v_add_f64 v[12:13], v[12:13], -v[40:41]
	s_waitcnt vmcnt(0)
	v_add_f64 v[20:21], v[14:15], v[14:15]
	v_div_scale_f64 v[28:29], s[22:23], v[20:21], v[20:21], v[12:13]
	v_rcp_f64_e32 v[30:31], v[28:29]
	v_fma_f64 v[32:33], -v[28:29], v[30:31], 1.0
	v_fma_f64 v[30:31], v[30:31], v[32:33], v[30:31]
	v_div_scale_f64 v[32:33], vcc, v[12:13], v[20:21], v[12:13]
	v_fma_f64 v[34:35], -v[28:29], v[30:31], 1.0
	v_fma_f64 v[30:31], v[30:31], v[34:35], v[30:31]
	v_mul_f64 v[34:35], v[32:33], v[30:31]
	v_fma_f64 v[28:29], -v[28:29], v[34:35], v[32:33]
	v_div_fmas_f64 v[28:29], v[28:29], v[30:31], v[34:35]
	v_div_fixup_f64 v[12:13], v[28:29], v[20:21], v[12:13]
	v_fma_f64 v[20:21], v[12:13], v[12:13], 1.0
	v_cmp_gt_f64_e32 vcc, s[60:61], v[20:21]
	v_cndmask_b32_e32 v1, 0, v57, vcc
	v_ldexp_f64 v[20:21], v[20:21], v1
	v_cndmask_b32_e32 v1, 0, v58, vcc
	v_rsq_f64_e32 v[28:29], v[20:21]
	v_cmp_class_f64_e32 vcc, v[20:21], v56
	v_mul_f64 v[30:31], v[20:21], v[28:29]
	v_mul_f64 v[28:29], v[28:29], 0.5
	v_fma_f64 v[32:33], -v[28:29], v[30:31], 0.5
	v_fma_f64 v[30:31], v[30:31], v[32:33], v[30:31]
	v_fma_f64 v[28:29], v[28:29], v[32:33], v[28:29]
	v_fma_f64 v[32:33], -v[30:31], v[30:31], v[20:21]
	v_fma_f64 v[30:31], v[32:33], v[28:29], v[30:31]
	v_fma_f64 v[32:33], -v[30:31], v[30:31], v[20:21]
	v_fma_f64 v[28:29], v[32:33], v[28:29], v[30:31]
	v_ldexp_f64 v[28:29], v[28:29], v1
	v_cndmask_b32_e32 v1, v29, v21, vcc
	v_cndmask_b32_e32 v20, v28, v20, vcc
	v_cmp_nle_f64_e32 vcc, 0, v[12:13]
	v_and_b32_e32 v7, 0x7fffffff, v1
	v_or_b32_e32 v1, 0x80000000, v1
	v_cndmask_b32_e32 v21, v7, v1, vcc
	v_add_f64 v[12:13], v[12:13], v[20:21]
	v_ashrrev_i32_e32 v1, 31, v0
	v_lshlrev_b64 v[35:36], 3, v[0:1]
	v_mov_b32_e32 v7, s19
	v_add_co_u32_e32 v33, vcc, s18, v35
	v_addc_co_u32_e32 v34, vcc, v7, v36, vcc
	v_div_scale_f64 v[20:21], s[22:23], v[12:13], v[12:13], v[14:15]
	global_load_dwordx2 v[37:38], v[33:34], off
	v_div_scale_f64 v[42:43], vcc, v[14:15], v[12:13], v[14:15]
	v_add_u32_e32 v1, 1, v27
	v_mov_b32_e32 v7, v6
	ds_write_b32 v6, v1 offset:36
	ds_write_b64 v6, v[6:7]
	v_rcp_f64_e32 v[28:29], v[20:21]
	v_fma_f64 v[30:31], -v[20:21], v[28:29], 1.0
	v_fma_f64 v[28:29], v[28:29], v[30:31], v[28:29]
	v_fma_f64 v[30:31], -v[20:21], v[28:29], 1.0
	v_fma_f64 v[28:29], v[28:29], v[30:31], v[28:29]
	v_mul_f64 v[30:31], v[42:43], v[28:29]
	v_fma_f64 v[20:21], -v[20:21], v[30:31], v[42:43]
	v_div_fmas_f64 v[20:21], v[20:21], v[28:29], v[30:31]
	v_mov_b32_e32 v31, 0
	s_waitcnt vmcnt(0)
	v_add_f64 v[28:29], v[37:38], -v[40:41]
	v_mov_b32_e32 v32, 0
	v_cmp_lt_i32_e32 vcc, v0, v24
	v_div_fixup_f64 v[12:13], v[20:21], v[12:13], v[14:15]
	v_add_f64 v[29:30], v[28:29], v[12:13]
	s_and_saveexec_b64 s[66:67], vcc
	s_cbranch_execz .LBB12_174
; %bb.148:                              ;   in Loop: Header=BB12_133 Depth=2
	v_mov_b32_e32 v1, s88
	v_add_co_u32_e32 v12, vcc, s10, v35
	v_addc_co_u32_e32 v13, vcc, v1, v36, vcc
	global_load_dwordx2 v[39:40], v[12:13], off
	v_mov_b32_e32 v43, 0
	v_mov_b32_e32 v27, 0
	;; [unrolled: 1-line block ×4, first 2 shown]
	s_waitcnt vmcnt(0)
	v_cmp_neq_f64_e32 vcc, 0, v[39:40]
	s_and_saveexec_b64 s[68:69], vcc
	s_cbranch_execz .LBB12_156
; %bb.149:                              ;   in Loop: Header=BB12_133 Depth=2
	v_cmp_neq_f64_e32 vcc, 0, v[29:30]
	v_mov_b32_e32 v27, 0
	v_mov_b32_e32 v43, 0
	;; [unrolled: 1-line block ×4, first 2 shown]
	s_and_saveexec_b64 s[70:71], vcc
	s_cbranch_execz .LBB12_155
; %bb.150:                              ;   in Loop: Header=BB12_133 Depth=2
	v_cmp_ngt_f64_e64 s[22:23], |v[39:40]|, |v[29:30]|
                                        ; implicit-def: $vgpr43_vgpr44
                                        ; implicit-def: $vgpr27_vgpr28
	s_and_saveexec_b64 s[72:73], s[22:23]
	s_xor_b64 s[72:73], exec, s[72:73]
	s_cbranch_execz .LBB12_152
; %bb.151:                              ;   in Loop: Header=BB12_133 Depth=2
	v_div_scale_f64 v[12:13], s[22:23], v[29:30], v[29:30], -v[39:40]
	v_rcp_f64_e32 v[14:15], v[12:13]
	v_fma_f64 v[20:21], -v[12:13], v[14:15], 1.0
	v_fma_f64 v[14:15], v[14:15], v[20:21], v[14:15]
	v_div_scale_f64 v[20:21], vcc, -v[39:40], v[29:30], -v[39:40]
	v_fma_f64 v[27:28], -v[12:13], v[14:15], 1.0
	v_fma_f64 v[14:15], v[14:15], v[27:28], v[14:15]
	v_mul_f64 v[27:28], v[20:21], v[14:15]
	v_fma_f64 v[12:13], -v[12:13], v[27:28], v[20:21]
	v_div_fmas_f64 v[12:13], v[12:13], v[14:15], v[27:28]
	v_div_fixup_f64 v[12:13], v[12:13], v[29:30], -v[39:40]
	v_fma_f64 v[14:15], v[12:13], v[12:13], 1.0
	v_cmp_gt_f64_e32 vcc, s[60:61], v[14:15]
	v_cndmask_b32_e32 v1, 0, v57, vcc
	v_ldexp_f64 v[14:15], v[14:15], v1
	v_cndmask_b32_e32 v1, 0, v58, vcc
	v_rsq_f64_e32 v[20:21], v[14:15]
	v_cmp_class_f64_e32 vcc, v[14:15], v56
	v_mul_f64 v[27:28], v[14:15], v[20:21]
	v_mul_f64 v[20:21], v[20:21], 0.5
	v_fma_f64 v[29:30], -v[20:21], v[27:28], 0.5
	v_fma_f64 v[27:28], v[27:28], v[29:30], v[27:28]
	v_fma_f64 v[20:21], v[20:21], v[29:30], v[20:21]
	v_fma_f64 v[29:30], -v[27:28], v[27:28], v[14:15]
	v_fma_f64 v[27:28], v[29:30], v[20:21], v[27:28]
	v_fma_f64 v[29:30], -v[27:28], v[27:28], v[14:15]
	v_fma_f64 v[20:21], v[29:30], v[20:21], v[27:28]
	v_ldexp_f64 v[20:21], v[20:21], v1
	v_cndmask_b32_e32 v15, v21, v15, vcc
	v_cndmask_b32_e32 v14, v20, v14, vcc
	v_div_scale_f64 v[20:21], s[22:23], v[14:15], v[14:15], 1.0
	v_div_scale_f64 v[31:32], vcc, 1.0, v[14:15], 1.0
	v_rcp_f64_e32 v[27:28], v[20:21]
	v_fma_f64 v[29:30], -v[20:21], v[27:28], 1.0
	v_fma_f64 v[27:28], v[27:28], v[29:30], v[27:28]
	v_fma_f64 v[29:30], -v[20:21], v[27:28], 1.0
	v_fma_f64 v[27:28], v[27:28], v[29:30], v[27:28]
	v_mul_f64 v[29:30], v[31:32], v[27:28]
	v_fma_f64 v[20:21], -v[20:21], v[29:30], v[31:32]
	v_div_fmas_f64 v[20:21], v[20:21], v[27:28], v[29:30]
                                        ; implicit-def: $vgpr29_vgpr30
	v_div_fixup_f64 v[27:28], v[20:21], v[14:15], 1.0
	v_mul_f64 v[43:44], v[12:13], v[27:28]
.LBB12_152:                             ;   in Loop: Header=BB12_133 Depth=2
	s_andn2_saveexec_b64 s[72:73], s[72:73]
	s_cbranch_execz .LBB12_154
; %bb.153:                              ;   in Loop: Header=BB12_133 Depth=2
	v_div_scale_f64 v[12:13], s[22:23], v[39:40], v[39:40], -v[29:30]
	v_rcp_f64_e32 v[14:15], v[12:13]
	v_fma_f64 v[20:21], -v[12:13], v[14:15], 1.0
	v_fma_f64 v[14:15], v[14:15], v[20:21], v[14:15]
	v_div_scale_f64 v[20:21], vcc, -v[29:30], v[39:40], -v[29:30]
	v_fma_f64 v[27:28], -v[12:13], v[14:15], 1.0
	v_fma_f64 v[14:15], v[14:15], v[27:28], v[14:15]
	v_mul_f64 v[27:28], v[20:21], v[14:15]
	v_fma_f64 v[12:13], -v[12:13], v[27:28], v[20:21]
	v_div_fmas_f64 v[12:13], v[12:13], v[14:15], v[27:28]
	v_div_fixup_f64 v[12:13], v[12:13], v[39:40], -v[29:30]
	v_fma_f64 v[14:15], v[12:13], v[12:13], 1.0
	v_cmp_gt_f64_e32 vcc, s[60:61], v[14:15]
	v_cndmask_b32_e32 v1, 0, v57, vcc
	v_ldexp_f64 v[14:15], v[14:15], v1
	v_cndmask_b32_e32 v1, 0, v58, vcc
	v_rsq_f64_e32 v[20:21], v[14:15]
	v_cmp_class_f64_e32 vcc, v[14:15], v56
	v_mul_f64 v[27:28], v[14:15], v[20:21]
	v_mul_f64 v[20:21], v[20:21], 0.5
	v_fma_f64 v[29:30], -v[20:21], v[27:28], 0.5
	v_fma_f64 v[27:28], v[27:28], v[29:30], v[27:28]
	v_fma_f64 v[20:21], v[20:21], v[29:30], v[20:21]
	v_fma_f64 v[29:30], -v[27:28], v[27:28], v[14:15]
	v_fma_f64 v[27:28], v[29:30], v[20:21], v[27:28]
	v_fma_f64 v[29:30], -v[27:28], v[27:28], v[14:15]
	v_fma_f64 v[20:21], v[29:30], v[20:21], v[27:28]
	v_ldexp_f64 v[20:21], v[20:21], v1
	v_cndmask_b32_e32 v15, v21, v15, vcc
	v_cndmask_b32_e32 v14, v20, v14, vcc
	v_div_scale_f64 v[20:21], s[22:23], v[14:15], v[14:15], 1.0
	v_div_scale_f64 v[31:32], vcc, 1.0, v[14:15], 1.0
	v_rcp_f64_e32 v[27:28], v[20:21]
	v_fma_f64 v[29:30], -v[20:21], v[27:28], 1.0
	v_fma_f64 v[27:28], v[27:28], v[29:30], v[27:28]
	v_fma_f64 v[29:30], -v[20:21], v[27:28], 1.0
	v_fma_f64 v[27:28], v[27:28], v[29:30], v[27:28]
	v_mul_f64 v[29:30], v[31:32], v[27:28]
	v_fma_f64 v[20:21], -v[20:21], v[29:30], v[31:32]
	v_div_fmas_f64 v[20:21], v[20:21], v[27:28], v[29:30]
	v_div_fixup_f64 v[43:44], v[20:21], v[14:15], 1.0
	v_mul_f64 v[27:28], v[12:13], v[43:44]
.LBB12_154:                             ;   in Loop: Header=BB12_133 Depth=2
	s_or_b64 exec, exec, s[72:73]
.LBB12_155:                             ;   in Loop: Header=BB12_133 Depth=2
	s_or_b64 exec, exec, s[70:71]
.LBB12_156:                             ;   in Loop: Header=BB12_133 Depth=2
	s_or_b64 exec, exec, s[68:69]
	global_load_dwordx2 v[12:13], v[33:34], off offset:8
	v_add_f64 v[14:15], v[27:28], v[27:28]
	v_mov_b32_e32 v1, s92
	v_add_co_u32_e32 v20, vcc, s91, v35
	v_addc_co_u32_e32 v21, vcc, v1, v36, vcc
	v_mov_b32_e32 v7, s47
	v_add_u32_e32 v45, 1, v0
	v_xor_b32_e32 v42, 0x80000000, v44
	v_mov_b32_e32 v41, v43
	s_waitcnt vmcnt(0)
	v_add_f64 v[12:13], v[12:13], -v[37:38]
	v_mul_f64 v[12:13], v[43:44], v[12:13]
	v_fma_f64 v[12:13], v[39:40], v[14:15], -v[12:13]
	v_mul_f64 v[31:32], v[12:13], -v[43:44]
	v_fma_f64 v[14:15], v[12:13], -v[43:44], v[37:38]
	v_fma_f64 v[29:30], v[27:28], v[12:13], -v[39:40]
	v_add_co_u32_e32 v12, vcc, s46, v20
	v_addc_co_u32_e32 v13, vcc, v21, v7, vcc
	v_cmp_lt_i32_e32 vcc, v45, v24
	ds_write_b64 v6, v[31:32]
	global_store_dwordx2 v[33:34], v[14:15], off
	global_store_dwordx2 v[20:21], v[27:28], off
	global_store_dwordx2 v[12:13], v[41:42], off offset:-8
	s_and_saveexec_b64 s[68:69], vcc
	s_cbranch_execz .LBB12_173
; %bb.157:                              ;   in Loop: Header=BB12_133 Depth=2
	v_ashrrev_i32_e32 v46, 31, v45
	v_lshlrev_b64 v[12:13], 3, v[45:46]
	v_mov_b32_e32 v1, s92
	v_add_co_u32_e32 v33, vcc, s91, v12
	v_addc_co_u32_e32 v34, vcc, v1, v13, vcc
	v_mov_b32_e32 v1, s53
	v_add_co_u32_e32 v35, vcc, s52, v12
	v_addc_co_u32_e32 v36, vcc, v1, v13, vcc
	;; [unrolled: 3-line block ×3, first 2 shown]
	s_mov_b32 s39, 1
	s_mov_b64 s[70:71], 0
	s_branch .LBB12_159
.LBB12_158:                             ;   in Loop: Header=BB12_159 Depth=3
	global_load_dwordx4 v[47:50], v[37:38], off
	v_mul_f64 v[20:21], v[27:28], v[39:40]
	v_add_f64 v[27:28], v[43:44], v[43:44]
	v_add_co_u32_e32 v35, vcc, 8, v35
	v_addc_co_u32_e32 v36, vcc, 0, v36, vcc
	v_mov_b32_e32 v1, s31
	s_add_i32 s39, s39, 1
	v_xor_b32_e32 v42, 0x80000000, v46
	v_mov_b32_e32 v41, v45
	s_waitcnt vmcnt(0)
	v_add_f64 v[12:13], v[47:48], -v[31:32]
	v_add_f64 v[14:15], v[49:50], -v[12:13]
	v_mul_f64 v[14:15], v[45:46], v[14:15]
	v_fma_f64 v[14:15], v[20:21], v[27:28], -v[14:15]
	v_add_co_u32_e32 v27, vcc, 8, v37
	v_addc_co_u32_e32 v28, vcc, 0, v38, vcc
	v_add_co_u32_e32 v39, vcc, s29, v33
	v_addc_co_u32_e32 v40, vcc, v34, v1, vcc
	v_fma_f64 v[12:13], v[14:15], -v[45:46], v[12:13]
	v_mul_f64 v[31:32], v[14:15], -v[45:46]
	v_fma_f64 v[29:30], v[43:44], v[14:15], -v[20:21]
	v_add_u32_e32 v1, s39, v0
	v_cmp_ge_i32_e32 vcc, v1, v24
	s_or_b64 s[70:71], vcc, s[70:71]
	global_store_dwordx2 v[37:38], v[12:13], off
	global_store_dwordx2 v[33:34], v[43:44], off
	;; [unrolled: 1-line block ×3, first 2 shown]
	v_mov_b32_e32 v38, v28
	v_add_co_u32_e32 v33, vcc, 8, v33
	v_mov_b32_e32 v37, v27
	v_mov_b32_e32 v27, v43
	v_addc_co_u32_e32 v34, vcc, 0, v34, vcc
	v_mov_b32_e32 v28, v44
	s_andn2_b64 exec, exec, s[70:71]
	s_cbranch_execz .LBB12_172
.LBB12_159:                             ;   Parent Loop BB12_7 Depth=1
                                        ;     Parent Loop BB12_133 Depth=2
                                        ; =>    This Inner Loop Header: Depth=3
	global_load_dwordx2 v[39:40], v[35:36], off offset:8
	v_mov_b32_e32 v45, 0
	v_mov_b32_e32 v43, 0
	;; [unrolled: 1-line block ×4, first 2 shown]
	s_waitcnt vmcnt(0)
	v_mul_f64 v[41:42], v[41:42], v[39:40]
	v_cmp_neq_f64_e32 vcc, 0, v[41:42]
	s_and_saveexec_b64 s[72:73], vcc
	s_cbranch_execz .LBB12_169
; %bb.160:                              ;   in Loop: Header=BB12_159 Depth=3
	v_cmp_neq_f64_e32 vcc, 0, v[29:30]
	v_xor_b32_e32 v48, 0x80000000, v42
	v_mov_b32_e32 v47, v41
                                        ; implicit-def: $vgpr45_vgpr46
                                        ; implicit-def: $vgpr43_vgpr44
	s_and_saveexec_b64 s[22:23], vcc
	s_xor_b64 s[74:75], exec, s[22:23]
	s_cbranch_execz .LBB12_166
; %bb.161:                              ;   in Loop: Header=BB12_159 Depth=3
	v_cmp_ngt_f64_e64 s[22:23], |v[41:42]|, |v[29:30]|
                                        ; implicit-def: $vgpr45_vgpr46
                                        ; implicit-def: $vgpr43_vgpr44
	s_and_saveexec_b64 s[76:77], s[22:23]
	s_xor_b64 s[76:77], exec, s[76:77]
	s_cbranch_execz .LBB12_163
; %bb.162:                              ;   in Loop: Header=BB12_159 Depth=3
	v_div_scale_f64 v[12:13], s[22:23], v[29:30], v[29:30], -v[41:42]
	v_rcp_f64_e32 v[14:15], v[12:13]
	v_fma_f64 v[20:21], -v[12:13], v[14:15], 1.0
	v_fma_f64 v[14:15], v[14:15], v[20:21], v[14:15]
	v_div_scale_f64 v[20:21], vcc, -v[41:42], v[29:30], -v[41:42]
	v_fma_f64 v[43:44], -v[12:13], v[14:15], 1.0
	v_fma_f64 v[14:15], v[14:15], v[43:44], v[14:15]
	v_mul_f64 v[43:44], v[20:21], v[14:15]
	v_fma_f64 v[12:13], -v[12:13], v[43:44], v[20:21]
	v_div_fmas_f64 v[12:13], v[12:13], v[14:15], v[43:44]
	v_div_fixup_f64 v[12:13], v[12:13], v[29:30], -v[41:42]
	v_fma_f64 v[14:15], v[12:13], v[12:13], 1.0
	v_cmp_gt_f64_e32 vcc, s[60:61], v[14:15]
	v_cndmask_b32_e32 v1, 0, v57, vcc
	v_ldexp_f64 v[14:15], v[14:15], v1
	v_cndmask_b32_e32 v1, 0, v58, vcc
	v_rsq_f64_e32 v[20:21], v[14:15]
	v_cmp_class_f64_e32 vcc, v[14:15], v56
	v_mul_f64 v[43:44], v[14:15], v[20:21]
	v_mul_f64 v[20:21], v[20:21], 0.5
	v_fma_f64 v[45:46], -v[20:21], v[43:44], 0.5
	v_fma_f64 v[43:44], v[43:44], v[45:46], v[43:44]
	v_fma_f64 v[20:21], v[20:21], v[45:46], v[20:21]
	v_fma_f64 v[45:46], -v[43:44], v[43:44], v[14:15]
	v_fma_f64 v[43:44], v[45:46], v[20:21], v[43:44]
	v_fma_f64 v[45:46], -v[43:44], v[43:44], v[14:15]
	v_fma_f64 v[20:21], v[45:46], v[20:21], v[43:44]
	v_ldexp_f64 v[20:21], v[20:21], v1
	v_cndmask_b32_e32 v15, v21, v15, vcc
	v_cndmask_b32_e32 v14, v20, v14, vcc
	v_div_scale_f64 v[20:21], s[22:23], v[14:15], v[14:15], 1.0
	v_div_scale_f64 v[47:48], vcc, 1.0, v[14:15], 1.0
	v_rcp_f64_e32 v[43:44], v[20:21]
	v_fma_f64 v[45:46], -v[20:21], v[43:44], 1.0
	v_fma_f64 v[43:44], v[43:44], v[45:46], v[43:44]
	v_fma_f64 v[45:46], -v[20:21], v[43:44], 1.0
	v_fma_f64 v[43:44], v[43:44], v[45:46], v[43:44]
	v_mul_f64 v[45:46], v[47:48], v[43:44]
	v_fma_f64 v[20:21], -v[20:21], v[45:46], v[47:48]
	v_div_fmas_f64 v[20:21], v[20:21], v[43:44], v[45:46]
	v_div_fixup_f64 v[43:44], v[20:21], v[14:15], 1.0
	v_mul_f64 v[45:46], v[12:13], v[43:44]
.LBB12_163:                             ;   in Loop: Header=BB12_159 Depth=3
	s_andn2_saveexec_b64 s[76:77], s[76:77]
	s_cbranch_execz .LBB12_165
; %bb.164:                              ;   in Loop: Header=BB12_159 Depth=3
	v_div_scale_f64 v[12:13], s[22:23], v[41:42], v[41:42], -v[29:30]
	v_rcp_f64_e32 v[14:15], v[12:13]
	v_fma_f64 v[20:21], -v[12:13], v[14:15], 1.0
	v_fma_f64 v[14:15], v[14:15], v[20:21], v[14:15]
	v_div_scale_f64 v[20:21], vcc, -v[29:30], v[41:42], -v[29:30]
	v_fma_f64 v[43:44], -v[12:13], v[14:15], 1.0
	v_fma_f64 v[14:15], v[14:15], v[43:44], v[14:15]
	v_mul_f64 v[43:44], v[20:21], v[14:15]
	v_fma_f64 v[12:13], -v[12:13], v[43:44], v[20:21]
	v_div_fmas_f64 v[12:13], v[12:13], v[14:15], v[43:44]
	v_div_fixup_f64 v[12:13], v[12:13], v[41:42], -v[29:30]
	v_fma_f64 v[14:15], v[12:13], v[12:13], 1.0
	v_cmp_gt_f64_e32 vcc, s[60:61], v[14:15]
	v_cndmask_b32_e32 v1, 0, v57, vcc
	v_ldexp_f64 v[14:15], v[14:15], v1
	v_cndmask_b32_e32 v1, 0, v58, vcc
	v_rsq_f64_e32 v[20:21], v[14:15]
	v_cmp_class_f64_e32 vcc, v[14:15], v56
	v_mul_f64 v[43:44], v[14:15], v[20:21]
	v_mul_f64 v[20:21], v[20:21], 0.5
	v_fma_f64 v[45:46], -v[20:21], v[43:44], 0.5
	v_fma_f64 v[43:44], v[43:44], v[45:46], v[43:44]
	v_fma_f64 v[20:21], v[20:21], v[45:46], v[20:21]
	v_fma_f64 v[45:46], -v[43:44], v[43:44], v[14:15]
	v_fma_f64 v[43:44], v[45:46], v[20:21], v[43:44]
	v_fma_f64 v[45:46], -v[43:44], v[43:44], v[14:15]
	v_fma_f64 v[20:21], v[45:46], v[20:21], v[43:44]
	v_ldexp_f64 v[20:21], v[20:21], v1
	v_cndmask_b32_e32 v15, v21, v15, vcc
	v_cndmask_b32_e32 v14, v20, v14, vcc
	v_div_scale_f64 v[20:21], s[22:23], v[14:15], v[14:15], 1.0
	v_div_scale_f64 v[47:48], vcc, 1.0, v[14:15], 1.0
	v_rcp_f64_e32 v[43:44], v[20:21]
	v_fma_f64 v[45:46], -v[20:21], v[43:44], 1.0
	v_fma_f64 v[43:44], v[43:44], v[45:46], v[43:44]
	v_fma_f64 v[45:46], -v[20:21], v[43:44], 1.0
	v_fma_f64 v[43:44], v[43:44], v[45:46], v[43:44]
	v_mul_f64 v[45:46], v[47:48], v[43:44]
	v_fma_f64 v[20:21], -v[20:21], v[45:46], v[47:48]
	v_div_fmas_f64 v[20:21], v[20:21], v[43:44], v[45:46]
	v_div_fixup_f64 v[45:46], v[20:21], v[14:15], 1.0
	v_mul_f64 v[43:44], v[12:13], v[45:46]
.LBB12_165:                             ;   in Loop: Header=BB12_159 Depth=3
	s_or_b64 exec, exec, s[76:77]
	v_mul_f64 v[12:13], v[41:42], v[45:46]
	v_fma_f64 v[47:48], v[29:30], v[43:44], -v[12:13]
.LBB12_166:                             ;   in Loop: Header=BB12_159 Depth=3
	s_andn2_saveexec_b64 s[74:75], s[74:75]
; %bb.167:                              ;   in Loop: Header=BB12_159 Depth=3
	v_mov_b32_e32 v43, 0
	v_mov_b32_e32 v45, 0
	;; [unrolled: 1-line block ×4, first 2 shown]
; %bb.168:                              ;   in Loop: Header=BB12_159 Depth=3
	s_or_b64 exec, exec, s[74:75]
	v_mov_b32_e32 v29, v47
	v_mov_b32_e32 v30, v48
.LBB12_169:                             ;   in Loop: Header=BB12_159 Depth=3
	s_or_b64 exec, exec, s[72:73]
	s_cmp_eq_u32 s39, 0
	s_cbranch_scc1 .LBB12_158
; %bb.170:                              ;   in Loop: Header=BB12_159 Depth=3
	global_store_dwordx2 v[35:36], v[29:30], off
	s_branch .LBB12_158
.LBB12_171:                             ;   in Loop: Header=BB12_133 Depth=2
	ds_write2_b32 v6, v0, v24 offset0:5 offset1:7
	s_cbranch_execz .LBB12_144
	s_branch .LBB12_145
.LBB12_172:                             ;   in Loop: Header=BB12_133 Depth=2
	s_or_b64 exec, exec, s[70:71]
	ds_write_b64 v6, v[31:32]
.LBB12_173:                             ;   in Loop: Header=BB12_133 Depth=2
	s_or_b64 exec, exec, s[68:69]
	global_load_dwordx2 v[40:41], v[25:26], off
.LBB12_174:                             ;   in Loop: Header=BB12_133 Depth=2
	s_or_b64 exec, exec, s[66:67]
	s_waitcnt vmcnt(0)
	v_add_f64 v[0:1], v[40:41], -v[31:32]
                                        ; implicit-def: $vgpr24
                                        ; implicit-def: $vgpr40_vgpr41
	global_store_dwordx2 v[25:26], v[0:1], off
	global_store_dwordx2 v[2:3], v[29:30], off offset:-8
                                        ; implicit-def: $vgpr25_vgpr26
                                        ; implicit-def: $vgpr28_vgpr29
                                        ; implicit-def: $vgpr0
.LBB12_175:                             ;   in Loop: Header=BB12_133 Depth=2
	s_andn2_saveexec_b64 s[66:67], s[4:5]
	s_cbranch_execz .LBB12_208
; %bb.176:                              ;   in Loop: Header=BB12_133 Depth=2
	v_ashrrev_i32_e32 v1, 31, v0
	v_lshlrev_b64 v[30:31], 3, v[0:1]
	v_mov_b32_e32 v1, s19
	v_add_co_u32_e32 v0, vcc, s18, v30
	v_addc_co_u32_e32 v1, vcc, v1, v31, vcc
	v_mov_b32_e32 v3, s88
	v_add_co_u32_e32 v2, vcc, s10, v30
	v_addc_co_u32_e32 v3, vcc, v3, v31, vcc
	global_load_dwordx2 v[0:1], v[0:1], off
	s_nop 0
	global_load_dwordx2 v[36:37], v[2:3], off
                                        ; implicit-def: $vgpr38_vgpr39
	s_waitcnt vmcnt(1)
	v_add_f64 v[34:35], v[0:1], -v[40:41]
	s_waitcnt vmcnt(0)
	v_add_f64 v[32:33], v[36:37], v[36:37]
	v_cmp_ngt_f64_e64 s[4:5], |v[34:35]|, |v[32:33]|
	s_and_saveexec_b64 s[22:23], s[4:5]
	s_xor_b64 s[4:5], exec, s[22:23]
	s_cbranch_execz .LBB12_182
; %bb.177:                              ;   in Loop: Header=BB12_133 Depth=2
	v_cmp_nlt_f64_e64 s[22:23], |v[34:35]|, |v[32:33]|
                                        ; implicit-def: $vgpr38_vgpr39
	s_and_saveexec_b64 s[68:69], s[22:23]
	s_xor_b64 s[68:69], exec, s[68:69]
; %bb.178:                              ;   in Loop: Header=BB12_133 Depth=2
	v_mul_f64 v[38:39], |v[32:33]|, s[80:81]
; %bb.179:                              ;   in Loop: Header=BB12_133 Depth=2
	s_andn2_saveexec_b64 s[68:69], s[68:69]
	s_cbranch_execz .LBB12_181
; %bb.180:                              ;   in Loop: Header=BB12_133 Depth=2
	v_and_b32_e32 v3, 0x7fffffff, v35
	v_mov_b32_e32 v2, v34
	v_and_b32_e32 v13, 0x7fffffff, v33
	v_mov_b32_e32 v12, v32
	v_div_scale_f64 v[14:15], s[22:23], v[12:13], v[12:13], v[2:3]
	v_div_scale_f64 v[2:3], vcc, v[2:3], v[12:13], v[2:3]
	v_rcp_f64_e32 v[20:21], v[14:15]
	v_fma_f64 v[38:39], -v[14:15], v[20:21], 1.0
	v_fma_f64 v[20:21], v[20:21], v[38:39], v[20:21]
	v_fma_f64 v[12:13], -v[14:15], v[20:21], 1.0
	v_fma_f64 v[12:13], v[20:21], v[12:13], v[20:21]
	v_mul_f64 v[20:21], v[2:3], v[12:13]
	v_fma_f64 v[2:3], -v[14:15], v[20:21], v[2:3]
	v_div_fmas_f64 v[2:3], v[2:3], v[12:13], v[20:21]
	v_div_fixup_f64 v[2:3], v[2:3], |v[32:33]|, |v[34:35]|
	v_fma_f64 v[2:3], v[2:3], v[2:3], 1.0
	v_cmp_gt_f64_e32 vcc, s[60:61], v[2:3]
	v_cndmask_b32_e32 v7, 0, v57, vcc
	v_ldexp_f64 v[2:3], v[2:3], v7
	v_cndmask_b32_e32 v7, 0, v58, vcc
	v_rsq_f64_e32 v[12:13], v[2:3]
	v_cmp_class_f64_e32 vcc, v[2:3], v56
	v_mul_f64 v[14:15], v[2:3], v[12:13]
	v_mul_f64 v[12:13], v[12:13], 0.5
	v_fma_f64 v[20:21], -v[12:13], v[14:15], 0.5
	v_fma_f64 v[14:15], v[14:15], v[20:21], v[14:15]
	v_fma_f64 v[12:13], v[12:13], v[20:21], v[12:13]
	v_fma_f64 v[20:21], -v[14:15], v[14:15], v[2:3]
	v_fma_f64 v[14:15], v[20:21], v[12:13], v[14:15]
	v_fma_f64 v[20:21], -v[14:15], v[14:15], v[2:3]
	v_fma_f64 v[12:13], v[20:21], v[12:13], v[14:15]
	v_ldexp_f64 v[12:13], v[12:13], v7
	v_cndmask_b32_e32 v3, v13, v3, vcc
	v_cndmask_b32_e32 v2, v12, v2, vcc
	v_mul_f64 v[38:39], |v[32:33]|, v[2:3]
.LBB12_181:                             ;   in Loop: Header=BB12_133 Depth=2
	s_or_b64 exec, exec, s[68:69]
.LBB12_182:                             ;   in Loop: Header=BB12_133 Depth=2
	s_andn2_saveexec_b64 s[4:5], s[4:5]
	s_cbranch_execz .LBB12_184
; %bb.183:                              ;   in Loop: Header=BB12_133 Depth=2
	v_and_b32_e32 v3, 0x7fffffff, v33
	v_mov_b32_e32 v2, v32
	v_and_b32_e32 v13, 0x7fffffff, v35
	v_mov_b32_e32 v12, v34
	v_div_scale_f64 v[14:15], s[22:23], v[12:13], v[12:13], v[2:3]
	v_div_scale_f64 v[2:3], vcc, v[2:3], v[12:13], v[2:3]
	v_rcp_f64_e32 v[20:21], v[14:15]
	v_fma_f64 v[38:39], -v[14:15], v[20:21], 1.0
	v_fma_f64 v[20:21], v[20:21], v[38:39], v[20:21]
	v_fma_f64 v[12:13], -v[14:15], v[20:21], 1.0
	v_fma_f64 v[12:13], v[20:21], v[12:13], v[20:21]
	v_mul_f64 v[20:21], v[2:3], v[12:13]
	v_fma_f64 v[2:3], -v[14:15], v[20:21], v[2:3]
	v_div_fmas_f64 v[2:3], v[2:3], v[12:13], v[20:21]
	v_div_fixup_f64 v[2:3], v[2:3], |v[34:35]|, |v[32:33]|
	v_fma_f64 v[2:3], v[2:3], v[2:3], 1.0
	v_cmp_gt_f64_e32 vcc, s[60:61], v[2:3]
	v_cndmask_b32_e32 v7, 0, v57, vcc
	v_ldexp_f64 v[2:3], v[2:3], v7
	v_cndmask_b32_e32 v7, 0, v58, vcc
	v_rsq_f64_e32 v[12:13], v[2:3]
	v_cmp_class_f64_e32 vcc, v[2:3], v56
	v_mul_f64 v[14:15], v[2:3], v[12:13]
	v_mul_f64 v[12:13], v[12:13], 0.5
	v_fma_f64 v[20:21], -v[12:13], v[14:15], 0.5
	v_fma_f64 v[14:15], v[14:15], v[20:21], v[14:15]
	v_fma_f64 v[12:13], v[12:13], v[20:21], v[12:13]
	v_fma_f64 v[20:21], -v[14:15], v[14:15], v[2:3]
	v_fma_f64 v[14:15], v[20:21], v[12:13], v[14:15]
	v_fma_f64 v[20:21], -v[14:15], v[14:15], v[2:3]
	v_fma_f64 v[12:13], v[20:21], v[12:13], v[14:15]
	v_ldexp_f64 v[12:13], v[12:13], v7
	v_cndmask_b32_e32 v3, v13, v3, vcc
	v_cndmask_b32_e32 v2, v12, v2, vcc
	v_mul_f64 v[38:39], |v[34:35]|, v[2:3]
.LBB12_184:                             ;   in Loop: Header=BB12_133 Depth=2
	s_or_b64 exec, exec, s[4:5]
	v_add_f64 v[44:45], v[40:41], v[0:1]
	v_cmp_gt_f64_e64 vcc, |v[0:1]|, |v[40:41]|
	v_cmp_ngt_f64_e64 s[4:5], 0, v[44:45]
	v_cndmask_b32_e32 v43, v1, v41, vcc
	v_cndmask_b32_e32 v42, v0, v40, vcc
	;; [unrolled: 1-line block ×4, first 2 shown]
                                        ; implicit-def: $vgpr2_vgpr3
	s_and_saveexec_b64 s[22:23], s[4:5]
	s_xor_b64 s[4:5], exec, s[22:23]
	s_cbranch_execz .LBB12_190
; %bb.185:                              ;   in Loop: Header=BB12_133 Depth=2
	v_cmp_nlt_f64_e32 vcc, 0, v[44:45]
                                        ; implicit-def: $vgpr2_vgpr3
	s_and_saveexec_b64 s[22:23], vcc
	s_xor_b64 s[68:69], exec, s[22:23]
	s_cbranch_execz .LBB12_187
; %bb.186:                              ;   in Loop: Header=BB12_133 Depth=2
	v_mul_f64 v[0:1], v[38:39], 0.5
	v_mul_f64 v[2:3], v[38:39], -0.5
                                        ; implicit-def: $vgpr44_vgpr45
                                        ; implicit-def: $vgpr40_vgpr41
                                        ; implicit-def: $vgpr36_vgpr37
                                        ; implicit-def: $vgpr42_vgpr43
.LBB12_187:                             ;   in Loop: Header=BB12_133 Depth=2
	s_andn2_saveexec_b64 s[68:69], s[68:69]
	s_cbranch_execz .LBB12_189
; %bb.188:                              ;   in Loop: Header=BB12_133 Depth=2
	v_add_f64 v[0:1], v[44:45], v[38:39]
	v_mul_f64 v[0:1], v[0:1], 0.5
	v_div_scale_f64 v[2:3], s[22:23], v[0:1], v[0:1], v[40:41]
	v_rcp_f64_e32 v[12:13], v[2:3]
	v_fma_f64 v[14:15], -v[2:3], v[12:13], 1.0
	v_fma_f64 v[12:13], v[12:13], v[14:15], v[12:13]
	v_fma_f64 v[14:15], -v[2:3], v[12:13], 1.0
	v_fma_f64 v[12:13], v[12:13], v[14:15], v[12:13]
	v_div_scale_f64 v[14:15], vcc, v[40:41], v[0:1], v[40:41]
	v_mul_f64 v[20:21], v[14:15], v[12:13]
	v_fma_f64 v[2:3], -v[2:3], v[20:21], v[14:15]
	s_nop 1
	v_div_fmas_f64 v[2:3], v[2:3], v[12:13], v[20:21]
	v_div_scale_f64 v[12:13], s[22:23], v[0:1], v[0:1], v[36:37]
	v_div_fixup_f64 v[2:3], v[2:3], v[0:1], v[40:41]
	v_rcp_f64_e32 v[14:15], v[12:13]
	v_fma_f64 v[20:21], -v[12:13], v[14:15], 1.0
	v_fma_f64 v[14:15], v[14:15], v[20:21], v[14:15]
	v_fma_f64 v[20:21], -v[12:13], v[14:15], 1.0
	v_fma_f64 v[14:15], v[14:15], v[20:21], v[14:15]
	v_div_scale_f64 v[20:21], vcc, v[36:37], v[0:1], v[36:37]
	v_mul_f64 v[40:41], v[20:21], v[14:15]
	v_fma_f64 v[12:13], -v[12:13], v[40:41], v[20:21]
	s_nop 1
	v_div_fmas_f64 v[12:13], v[12:13], v[14:15], v[40:41]
	v_div_fixup_f64 v[12:13], v[12:13], v[0:1], v[36:37]
	v_mul_f64 v[12:13], v[36:37], v[12:13]
	v_fma_f64 v[2:3], v[42:43], v[2:3], -v[12:13]
.LBB12_189:                             ;   in Loop: Header=BB12_133 Depth=2
	s_or_b64 exec, exec, s[68:69]
                                        ; implicit-def: $vgpr44_vgpr45
                                        ; implicit-def: $vgpr40_vgpr41
                                        ; implicit-def: $vgpr36_vgpr37
                                        ; implicit-def: $vgpr42_vgpr43
.LBB12_190:                             ;   in Loop: Header=BB12_133 Depth=2
	s_or_saveexec_b64 s[4:5], s[4:5]
	v_mov_b32_e32 v7, 1
	s_xor_b64 exec, exec, s[4:5]
	s_cbranch_execz .LBB12_192
; %bb.191:                              ;   in Loop: Header=BB12_133 Depth=2
	v_add_f64 v[0:1], v[44:45], -v[38:39]
	v_mov_b32_e32 v7, -1
	v_mul_f64 v[0:1], v[0:1], 0.5
	v_div_scale_f64 v[2:3], s[22:23], v[0:1], v[0:1], v[40:41]
	v_rcp_f64_e32 v[12:13], v[2:3]
	v_fma_f64 v[14:15], -v[2:3], v[12:13], 1.0
	v_fma_f64 v[12:13], v[12:13], v[14:15], v[12:13]
	v_fma_f64 v[14:15], -v[2:3], v[12:13], 1.0
	v_fma_f64 v[12:13], v[12:13], v[14:15], v[12:13]
	v_div_scale_f64 v[14:15], vcc, v[40:41], v[0:1], v[40:41]
	v_mul_f64 v[20:21], v[14:15], v[12:13]
	v_fma_f64 v[2:3], -v[2:3], v[20:21], v[14:15]
	s_nop 1
	v_div_fmas_f64 v[2:3], v[2:3], v[12:13], v[20:21]
	v_div_scale_f64 v[12:13], s[22:23], v[0:1], v[0:1], v[36:37]
	v_div_fixup_f64 v[2:3], v[2:3], v[0:1], v[40:41]
	v_rcp_f64_e32 v[14:15], v[12:13]
	v_fma_f64 v[20:21], -v[12:13], v[14:15], 1.0
	v_fma_f64 v[14:15], v[14:15], v[20:21], v[14:15]
	v_fma_f64 v[20:21], -v[12:13], v[14:15], 1.0
	v_fma_f64 v[14:15], v[14:15], v[20:21], v[14:15]
	v_div_scale_f64 v[20:21], vcc, v[36:37], v[0:1], v[36:37]
	v_mul_f64 v[40:41], v[20:21], v[14:15]
	v_fma_f64 v[12:13], -v[12:13], v[40:41], v[20:21]
	s_nop 1
	v_div_fmas_f64 v[12:13], v[12:13], v[14:15], v[40:41]
	v_div_fixup_f64 v[12:13], v[12:13], v[0:1], v[36:37]
	v_mul_f64 v[12:13], v[36:37], v[12:13]
	v_fma_f64 v[2:3], v[42:43], v[2:3], -v[12:13]
.LBB12_192:                             ;   in Loop: Header=BB12_133 Depth=2
	s_or_b64 exec, exec, s[4:5]
	v_cmp_nle_f64_e64 s[4:5], 0, v[34:35]
	v_xor_b32_e32 v12, 0x80000000, v39
                                        ; implicit-def: $vgpr36_vgpr37
	v_cndmask_b32_e64 v39, v39, v12, s[4:5]
	v_add_f64 v[34:35], v[34:35], v[38:39]
                                        ; implicit-def: $vgpr38_vgpr39
	v_cmp_ngt_f64_e64 s[22:23], |v[34:35]|, |v[32:33]|
	s_and_saveexec_b64 s[68:69], s[22:23]
	s_xor_b64 s[68:69], exec, s[68:69]
	s_cbranch_execz .LBB12_196
; %bb.193:                              ;   in Loop: Header=BB12_133 Depth=2
	v_cmp_neq_f64_e32 vcc, 0, v[32:33]
	v_mov_b32_e32 v36, 0
	v_mov_b32_e32 v38, 0
	;; [unrolled: 1-line block ×4, first 2 shown]
	s_and_saveexec_b64 s[70:71], vcc
	s_cbranch_execz .LBB12_195
; %bb.194:                              ;   in Loop: Header=BB12_133 Depth=2
	v_div_scale_f64 v[12:13], s[22:23], v[32:33], v[32:33], -v[34:35]
	v_rcp_f64_e32 v[14:15], v[12:13]
	v_fma_f64 v[20:21], -v[12:13], v[14:15], 1.0
	v_fma_f64 v[14:15], v[14:15], v[20:21], v[14:15]
	v_div_scale_f64 v[20:21], vcc, -v[34:35], v[32:33], -v[34:35]
	v_fma_f64 v[36:37], -v[12:13], v[14:15], 1.0
	v_fma_f64 v[14:15], v[14:15], v[36:37], v[14:15]
	v_mul_f64 v[36:37], v[20:21], v[14:15]
	v_fma_f64 v[12:13], -v[12:13], v[36:37], v[20:21]
	v_div_fmas_f64 v[12:13], v[12:13], v[14:15], v[36:37]
	v_div_fixup_f64 v[12:13], v[12:13], v[32:33], -v[34:35]
	v_fma_f64 v[14:15], v[12:13], v[12:13], 1.0
	v_cmp_gt_f64_e32 vcc, s[60:61], v[14:15]
	v_cndmask_b32_e32 v20, 0, v57, vcc
	v_ldexp_f64 v[14:15], v[14:15], v20
	v_cndmask_b32_e32 v27, 0, v58, vcc
	v_rsq_f64_e32 v[20:21], v[14:15]
	v_cmp_class_f64_e32 vcc, v[14:15], v56
	v_mul_f64 v[32:33], v[14:15], v[20:21]
	v_mul_f64 v[20:21], v[20:21], 0.5
	v_fma_f64 v[34:35], -v[20:21], v[32:33], 0.5
	v_fma_f64 v[32:33], v[32:33], v[34:35], v[32:33]
	v_fma_f64 v[20:21], v[20:21], v[34:35], v[20:21]
	v_fma_f64 v[34:35], -v[32:33], v[32:33], v[14:15]
	v_fma_f64 v[32:33], v[34:35], v[20:21], v[32:33]
	v_fma_f64 v[34:35], -v[32:33], v[32:33], v[14:15]
	v_fma_f64 v[20:21], v[34:35], v[20:21], v[32:33]
	v_ldexp_f64 v[20:21], v[20:21], v27
	v_cndmask_b32_e32 v15, v21, v15, vcc
	v_cndmask_b32_e32 v14, v20, v14, vcc
	v_div_scale_f64 v[20:21], s[22:23], v[14:15], v[14:15], 1.0
	v_div_scale_f64 v[36:37], vcc, 1.0, v[14:15], 1.0
	v_rcp_f64_e32 v[32:33], v[20:21]
	v_fma_f64 v[34:35], -v[20:21], v[32:33], 1.0
	v_fma_f64 v[32:33], v[32:33], v[34:35], v[32:33]
	v_fma_f64 v[34:35], -v[20:21], v[32:33], 1.0
	v_fma_f64 v[32:33], v[32:33], v[34:35], v[32:33]
	v_mul_f64 v[34:35], v[36:37], v[32:33]
	v_fma_f64 v[20:21], -v[20:21], v[34:35], v[36:37]
	v_div_fmas_f64 v[20:21], v[20:21], v[32:33], v[34:35]
	v_div_fixup_f64 v[38:39], v[20:21], v[14:15], 1.0
	v_mul_f64 v[36:37], v[12:13], v[38:39]
.LBB12_195:                             ;   in Loop: Header=BB12_133 Depth=2
	s_or_b64 exec, exec, s[70:71]
                                        ; implicit-def: $vgpr34_vgpr35
                                        ; implicit-def: $vgpr32_vgpr33
.LBB12_196:                             ;   in Loop: Header=BB12_133 Depth=2
	s_andn2_saveexec_b64 s[68:69], s[68:69]
	s_cbranch_execz .LBB12_198
; %bb.197:                              ;   in Loop: Header=BB12_133 Depth=2
	v_div_scale_f64 v[12:13], s[22:23], v[34:35], v[34:35], -v[32:33]
	v_rcp_f64_e32 v[14:15], v[12:13]
	v_fma_f64 v[20:21], -v[12:13], v[14:15], 1.0
	v_fma_f64 v[14:15], v[14:15], v[20:21], v[14:15]
	v_div_scale_f64 v[20:21], vcc, -v[32:33], v[34:35], -v[32:33]
	v_fma_f64 v[36:37], -v[12:13], v[14:15], 1.0
	v_fma_f64 v[14:15], v[14:15], v[36:37], v[14:15]
	v_mul_f64 v[36:37], v[20:21], v[14:15]
	v_fma_f64 v[12:13], -v[12:13], v[36:37], v[20:21]
	v_div_fmas_f64 v[12:13], v[12:13], v[14:15], v[36:37]
	v_div_fixup_f64 v[12:13], v[12:13], v[34:35], -v[32:33]
	v_fma_f64 v[14:15], v[12:13], v[12:13], 1.0
	v_cmp_gt_f64_e32 vcc, s[60:61], v[14:15]
	v_cndmask_b32_e32 v20, 0, v57, vcc
	v_ldexp_f64 v[14:15], v[14:15], v20
	v_cndmask_b32_e32 v27, 0, v58, vcc
	v_rsq_f64_e32 v[20:21], v[14:15]
	v_cmp_class_f64_e32 vcc, v[14:15], v56
	v_mul_f64 v[32:33], v[14:15], v[20:21]
	v_mul_f64 v[20:21], v[20:21], 0.5
	v_fma_f64 v[34:35], -v[20:21], v[32:33], 0.5
	v_fma_f64 v[32:33], v[32:33], v[34:35], v[32:33]
	v_fma_f64 v[20:21], v[20:21], v[34:35], v[20:21]
	v_fma_f64 v[34:35], -v[32:33], v[32:33], v[14:15]
	v_fma_f64 v[32:33], v[34:35], v[20:21], v[32:33]
	v_fma_f64 v[34:35], -v[32:33], v[32:33], v[14:15]
	v_fma_f64 v[20:21], v[34:35], v[20:21], v[32:33]
	v_ldexp_f64 v[20:21], v[20:21], v27
	v_cndmask_b32_e32 v15, v21, v15, vcc
	v_cndmask_b32_e32 v14, v20, v14, vcc
	v_div_scale_f64 v[20:21], s[22:23], v[14:15], v[14:15], 1.0
	v_div_scale_f64 v[36:37], vcc, 1.0, v[14:15], 1.0
	v_rcp_f64_e32 v[32:33], v[20:21]
	v_fma_f64 v[34:35], -v[20:21], v[32:33], 1.0
	v_fma_f64 v[32:33], v[32:33], v[34:35], v[32:33]
	v_fma_f64 v[34:35], -v[20:21], v[32:33], 1.0
	v_fma_f64 v[32:33], v[32:33], v[34:35], v[32:33]
	v_mul_f64 v[34:35], v[36:37], v[32:33]
	v_fma_f64 v[20:21], -v[20:21], v[34:35], v[36:37]
	v_div_fmas_f64 v[20:21], v[20:21], v[32:33], v[34:35]
	v_div_fixup_f64 v[36:37], v[20:21], v[14:15], 1.0
	v_mul_f64 v[38:39], v[12:13], v[36:37]
.LBB12_198:                             ;   in Loop: Header=BB12_133 Depth=2
	s_or_b64 exec, exec, s[68:69]
	v_cndmask_b32_e64 v12, 1, -1, s[4:5]
	v_xor_b32_e32 v13, 0x80000000, v37
	v_cmp_eq_u32_e32 vcc, v7, v12
	v_cndmask_b32_e32 v13, v39, v13, vcc
	v_cndmask_b32_e32 v12, v38, v36, vcc
	;; [unrolled: 1-line block ×4, first 2 shown]
	v_mov_b32_e32 v7, s92
	v_add_co_u32_e32 v20, vcc, s91, v30
	v_addc_co_u32_e32 v21, vcc, v7, v31, vcc
	global_store_dwordx2 v[20:21], v[12:13], off
	v_mov_b32_e32 v7, s47
	v_add_co_u32_e32 v12, vcc, s46, v20
	v_addc_co_u32_e32 v13, vcc, v21, v7, vcc
	global_store_dwordx2 v[12:13], v[14:15], off offset:-8
	global_store_dwordx4 v[25:26], v[0:3], off offset:-8
	v_mov_b32_e32 v7, v6
	v_mov_b32_e32 v1, s88
	v_add_co_u32_e32 v0, vcc, s10, v28
	v_addc_co_u32_e32 v1, vcc, v1, v29, vcc
	global_store_dwordx2 v[0:1], v[6:7], off offset:-8
	v_add_u32_e32 v0, -2, v24
	ds_write_b32 v6, v0 offset:16
	s_or_b64 exec, exec, s[66:67]
                                        ; implicit-def: $vgpr1
.LBB12_199:                             ;   in Loop: Header=BB12_133 Depth=2
	s_andn2_saveexec_b64 s[4:5], s[64:65]
.LBB12_200:                             ;   in Loop: Header=BB12_133 Depth=2
	ds_write_b32 v6, v1 offset:16
.LBB12_201:                             ;   in Loop: Header=BB12_133 Depth=2
	s_or_b64 exec, exec, s[4:5]
.LBB12_202:                             ;   in Loop: Header=BB12_133 Depth=2
	s_or_b64 exec, exec, s[6:7]
	s_waitcnt vmcnt(0) lgkmcnt(0)
	s_barrier
	ds_read_b64 v[0:1], v6 offset:16
	s_waitcnt lgkmcnt(0)
	v_readfirstlane_b32 s6, v1
	v_cmp_eq_u32_e32 vcc, s6, v0
	v_mov_b32_e32 v24, s6
	s_cbranch_vccnz .LBB12_132
; %bb.203:                              ;   in Loop: Header=BB12_133 Depth=2
	s_and_saveexec_b64 s[4:5], s[2:3]
	s_cbranch_execz .LBB12_131
; %bb.204:                              ;   in Loop: Header=BB12_133 Depth=2
	ds_read_b32 v0, v6 offset:28
	s_ashr_i32 s7, s6, 31
	s_lshl_b64 s[64:65], s[6:7], 3
	s_mul_i32 s22, s6, s11
	v_mov_b32_e32 v2, v4
	s_waitcnt lgkmcnt(0)
	v_readfirstlane_b32 s7, v0
	s_sub_i32 s39, s7, s6
	s_add_u32 s6, s91, s64
	s_addc_u32 s7, s92, s65
	s_ashr_i32 s23, s22, 31
	s_lshl_b64 s[22:23], s[22:23], 3
	s_add_u32 s51, s89, s22
	s_addc_u32 s62, s90, s23
	s_cmp_gt_i32 s39, 0
	s_mul_hi_i32 s67, s39, s42
	s_mul_i32 s66, s39, s42
	s_cselect_b64 s[64:65], -1, 0
	s_lshl_b64 s[66:67], s[66:67], 3
	s_add_u32 s70, s51, s66
	v_mov_b32_e32 v1, s23
	v_add_co_u32_e32 v0, vcc, s22, v5
	s_addc_u32 s71, s62, s67
	v_addc_co_u32_e32 v1, vcc, v55, v1, vcc
	s_mov_b64 s[66:67], 0
	s_branch .LBB12_206
.LBB12_205:                             ;   in Loop: Header=BB12_206 Depth=3
	v_mov_b32_e32 v3, s71
	v_add_co_u32_e32 v12, vcc, s70, v24
	v_addc_co_u32_e32 v13, vcc, v3, v25, vcc
	v_add_u32_e32 v2, s30, v2
	v_cmp_le_i32_e32 vcc, s28, v2
	v_mov_b32_e32 v3, s45
	s_or_b64 s[66:67], vcc, s[66:67]
	v_add_co_u32_e32 v0, vcc, s44, v0
	v_addc_co_u32_e32 v1, vcc, v1, v3, vcc
	s_waitcnt vmcnt(0)
	global_store_dwordx2 v[12:13], v[26:27], off
	s_andn2_b64 exec, exec, s[66:67]
	s_cbranch_execz .LBB12_131
.LBB12_206:                             ;   Parent Loop BB12_7 Depth=1
                                        ;     Parent Loop BB12_133 Depth=2
                                        ; =>    This Loop Header: Depth=3
                                        ;         Child Loop BB12_207 Depth 4
	v_ashrrev_i32_e32 v3, 31, v2
	v_lshlrev_b64 v[24:25], 3, v[2:3]
	v_mov_b32_e32 v3, s62
	v_add_co_u32_e32 v12, vcc, s51, v24
	v_addc_co_u32_e32 v13, vcc, v3, v25, vcc
	global_load_dwordx2 v[26:27], v[12:13], off
	v_mov_b32_e32 v29, v1
	s_andn2_b64 vcc, exec, s[64:65]
	s_mov_b64 s[68:69], s[6:7]
	v_mov_b32_e32 v28, v0
	s_mov_b32 s72, s39
	s_cbranch_vccnz .LBB12_205
.LBB12_207:                             ;   Parent Loop BB12_7 Depth=1
                                        ;     Parent Loop BB12_133 Depth=2
                                        ;       Parent Loop BB12_206 Depth=3
                                        ; =>      This Inner Loop Header: Depth=4
	v_mov_b32_e32 v3, s57
	v_add_co_u32_e32 v12, vcc, s56, v28
	s_add_u32 s22, s68, s29
	v_addc_co_u32_e32 v13, vcc, v29, v3, vcc
	s_addc_u32 s23, s69, s31
	global_load_dwordx2 v[14:15], v[12:13], off
	global_load_dwordx2 v[20:21], v6, s[22:23]
	global_load_dwordx2 v[30:31], v6, s[68:69]
	s_add_i32 s72, s72, -1
	s_add_u32 s68, s68, 8
	s_addc_u32 s69, s69, 0
	s_cmp_eq_u32 s72, 0
	s_waitcnt vmcnt(1)
	v_mul_f64 v[32:33], v[20:21], v[14:15]
	v_mul_f64 v[20:21], v[26:27], v[20:21]
	s_waitcnt vmcnt(0)
	v_fma_f64 v[32:33], v[26:27], v[30:31], v[32:33]
	v_fma_f64 v[26:27], v[30:31], v[14:15], -v[20:21]
	global_store_dwordx2 v[28:29], v[32:33], off
	v_mov_b32_e32 v29, v13
	v_mov_b32_e32 v28, v12
	s_cbranch_scc0 .LBB12_207
	s_branch .LBB12_205
.LBB12_208:                             ;   in Loop: Header=BB12_133 Depth=2
	s_or_b64 exec, exec, s[66:67]
                                        ; implicit-def: $vgpr1
	s_andn2_saveexec_b64 s[4:5], s[64:65]
	s_cbranch_execnz .LBB12_200
	s_branch .LBB12_201
.LBB12_209:                             ;   in Loop: Header=BB12_7 Depth=1
	v_mov_b32_e32 v59, v25
	s_waitcnt vmcnt(1)
	buffer_store_dword v28, off, s[96:99], 0 ; 4-byte Folded Spill
	s_waitcnt vmcnt(1)
	buffer_store_dword v29, off, s[96:99], 0 offset:4 ; 4-byte Folded Spill
	buffer_store_dword v30, off, s[96:99], 0 offset:8 ; 4-byte Folded Spill
	s_nop 0
	buffer_store_dword v31, off, s[96:99], 0 offset:12 ; 4-byte Folded Spill
.LBB12_210:                             ;   in Loop: Header=BB12_7 Depth=1
	s_waitcnt vmcnt(0)
	s_barrier
	ds_read_b64 v[0:1], v6 offset:8
	s_waitcnt lgkmcnt(0)
	v_cmp_nlt_f64_e32 vcc, s[54:55], v[0:1]
	s_cbranch_vccnz .LBB12_217
; %bb.211:                              ;   in Loop: Header=BB12_7 Depth=1
	v_div_scale_f64 v[2:3], s[4:5], v[0:1], v[0:1], s[54:55]
	v_div_scale_f64 v[20:21], vcc, s[54:55], v[0:1], s[54:55]
	ds_read2_b32 v[24:25], v6 offset0:7 offset1:10
	v_rcp_f64_e32 v[12:13], v[2:3]
	v_fma_f64 v[14:15], -v[2:3], v[12:13], 1.0
	v_fma_f64 v[12:13], v[12:13], v[14:15], v[12:13]
	v_fma_f64 v[14:15], -v[2:3], v[12:13], 1.0
	v_fma_f64 v[12:13], v[12:13], v[14:15], v[12:13]
	v_mul_f64 v[14:15], v[20:21], v[12:13]
	v_fma_f64 v[2:3], -v[2:3], v[14:15], v[20:21]
	v_div_fmas_f64 v[2:3], v[2:3], v[12:13], v[14:15]
	v_div_fixup_f64 v[2:3], v[2:3], v[0:1], s[54:55]
	s_and_saveexec_b64 s[4:5], s[0:1]
	s_cbranch_execz .LBB12_213
; %bb.212:                              ;   in Loop: Header=BB12_7 Depth=1
	s_waitcnt lgkmcnt(0)
	v_ashrrev_i32_e32 v13, 31, v25
	v_mov_b32_e32 v12, v25
	v_lshlrev_b64 v[12:13], 3, v[12:13]
	v_mov_b32_e32 v7, s19
	v_add_co_u32_e32 v12, vcc, s18, v12
	v_addc_co_u32_e32 v13, vcc, v7, v13, vcc
	global_load_dwordx2 v[14:15], v[12:13], off
	s_waitcnt vmcnt(0)
	v_mul_f64 v[14:15], v[2:3], v[14:15]
	global_store_dwordx2 v[12:13], v[14:15], off
.LBB12_213:                             ;   in Loop: Header=BB12_7 Depth=1
	s_or_b64 exec, exec, s[4:5]
	s_waitcnt lgkmcnt(0)
	v_add_u32_e32 v26, v24, v4
	v_cmp_lt_i32_e32 vcc, v26, v25
	s_and_saveexec_b64 s[4:5], vcc
	s_cbranch_execz .LBB12_216
; %bb.214:                              ;   in Loop: Header=BB12_7 Depth=1
	v_ashrrev_i32_e32 v27, 31, v26
	v_lshlrev_b64 v[27:28], 3, v[26:27]
	s_mov_b64 s[6:7], 0
.LBB12_215:                             ;   Parent Loop BB12_7 Depth=1
                                        ; =>  This Inner Loop Header: Depth=2
	v_mov_b32_e32 v7, s19
	v_add_co_u32_e32 v12, vcc, s18, v27
	v_addc_co_u32_e32 v13, vcc, v7, v28, vcc
	global_load_dwordx2 v[14:15], v[12:13], off
	v_mov_b32_e32 v7, s88
	v_add_co_u32_e32 v20, vcc, s10, v27
	v_addc_co_u32_e32 v21, vcc, v7, v28, vcc
	v_mov_b32_e32 v7, s45
	v_add_co_u32_e32 v27, vcc, s44, v27
	v_add_u32_e32 v26, s30, v26
	v_addc_co_u32_e32 v28, vcc, v28, v7, vcc
	v_cmp_ge_i32_e32 vcc, v26, v25
	s_or_b64 s[6:7], vcc, s[6:7]
	s_waitcnt vmcnt(0)
	v_mul_f64 v[14:15], v[2:3], v[14:15]
	global_store_dwordx2 v[12:13], v[14:15], off
	global_load_dwordx2 v[12:13], v[20:21], off
	s_waitcnt vmcnt(0)
	v_mul_f64 v[12:13], v[2:3], v[12:13]
	global_store_dwordx2 v[20:21], v[12:13], off
	s_andn2_b64 exec, exec, s[6:7]
	s_cbranch_execnz .LBB12_215
.LBB12_216:                             ;   in Loop: Header=BB12_7 Depth=1
	s_or_b64 exec, exec, s[4:5]
.LBB12_217:                             ;   in Loop: Header=BB12_7 Depth=1
	v_cmp_ngt_f64_e32 vcc, s[26:27], v[0:1]
	s_cbranch_vccnz .LBB12_5
; %bb.218:                              ;   in Loop: Header=BB12_7 Depth=1
	v_div_scale_f64 v[2:3], s[4:5], v[0:1], v[0:1], s[26:27]
	v_div_scale_f64 v[20:21], vcc, s[26:27], v[0:1], s[26:27]
	v_rcp_f64_e32 v[12:13], v[2:3]
	v_fma_f64 v[14:15], -v[2:3], v[12:13], 1.0
	v_fma_f64 v[12:13], v[12:13], v[14:15], v[12:13]
	v_fma_f64 v[14:15], -v[2:3], v[12:13], 1.0
	v_fma_f64 v[12:13], v[12:13], v[14:15], v[12:13]
	v_mul_f64 v[14:15], v[20:21], v[12:13]
	v_fma_f64 v[2:3], -v[2:3], v[14:15], v[20:21]
	v_div_fmas_f64 v[2:3], v[2:3], v[12:13], v[14:15]
	v_div_fixup_f64 v[0:1], v[2:3], v[0:1], s[26:27]
	ds_read2_b32 v[2:3], v6 offset0:7 offset1:10
	s_and_saveexec_b64 s[4:5], s[0:1]
	s_cbranch_execz .LBB12_220
; %bb.219:                              ;   in Loop: Header=BB12_7 Depth=1
	s_waitcnt lgkmcnt(0)
	v_ashrrev_i32_e32 v13, 31, v3
	v_mov_b32_e32 v12, v3
	v_lshlrev_b64 v[12:13], 3, v[12:13]
	v_mov_b32_e32 v7, s19
	v_add_co_u32_e32 v12, vcc, s18, v12
	v_addc_co_u32_e32 v13, vcc, v7, v13, vcc
	global_load_dwordx2 v[14:15], v[12:13], off
	s_waitcnt vmcnt(0)
	v_mul_f64 v[14:15], v[0:1], v[14:15]
	global_store_dwordx2 v[12:13], v[14:15], off
.LBB12_220:                             ;   in Loop: Header=BB12_7 Depth=1
	s_or_b64 exec, exec, s[4:5]
	s_waitcnt lgkmcnt(0)
	v_add_u32_e32 v24, v2, v4
	v_cmp_lt_i32_e32 vcc, v24, v3
	s_and_saveexec_b64 s[4:5], vcc
	s_cbranch_execz .LBB12_4
; %bb.221:                              ;   in Loop: Header=BB12_7 Depth=1
	v_ashrrev_i32_e32 v25, 31, v24
	v_lshlrev_b64 v[25:26], 3, v[24:25]
	s_mov_b64 s[6:7], 0
.LBB12_222:                             ;   Parent Loop BB12_7 Depth=1
                                        ; =>  This Inner Loop Header: Depth=2
	v_mov_b32_e32 v2, s19
	v_add_co_u32_e32 v12, vcc, s18, v25
	v_addc_co_u32_e32 v13, vcc, v2, v26, vcc
	global_load_dwordx2 v[14:15], v[12:13], off
	v_mov_b32_e32 v2, s88
	v_add_co_u32_e32 v20, vcc, s10, v25
	v_addc_co_u32_e32 v21, vcc, v2, v26, vcc
	v_mov_b32_e32 v2, s45
	v_add_co_u32_e32 v25, vcc, s44, v25
	v_add_u32_e32 v24, s30, v24
	v_addc_co_u32_e32 v26, vcc, v26, v2, vcc
	v_cmp_ge_i32_e32 vcc, v24, v3
	s_or_b64 s[6:7], vcc, s[6:7]
	s_waitcnt vmcnt(0)
	v_mul_f64 v[14:15], v[0:1], v[14:15]
	global_store_dwordx2 v[12:13], v[14:15], off
	global_load_dwordx2 v[12:13], v[20:21], off
	s_waitcnt vmcnt(0)
	v_mul_f64 v[12:13], v[0:1], v[12:13]
	global_store_dwordx2 v[20:21], v[12:13], off
	s_andn2_b64 exec, exec, s[6:7]
	s_cbranch_execnz .LBB12_222
	s_branch .LBB12_4
.LBB12_223:
	v_cmp_gt_i32_e32 vcc, s38, v4
	s_and_saveexec_b64 s[2:3], vcc
	s_cbranch_execz .LBB12_229
; %bb.224:
	s_lshl_b64 s[4:5], s[36:37], 2
	s_add_u32 s4, s14, s4
	s_addc_u32 s5, s15, s5
	s_lshl_b64 s[6:7], s[40:41], 3
	v_ashrrev_i32_e32 v5, 31, v4
	v_lshlrev_b64 v[0:1], 3, v[4:5]
	s_add_u32 s6, s20, s6
	s_addc_u32 s7, s21, s7
	s_ashr_i32 s31, s30, 31
	v_mov_b32_e32 v2, s7
	v_add_co_u32_e32 v0, vcc, s6, v0
	s_lshl_b64 s[6:7], s[30:31], 3
	v_addc_co_u32_e32 v1, vcc, v2, v1, vcc
	s_mov_b64 s[14:15], 0
	v_mov_b32_e32 v2, 0
	v_mov_b32_e32 v3, s7
	s_branch .LBB12_226
.LBB12_225:                             ;   in Loop: Header=BB12_226 Depth=1
	s_or_b64 exec, exec, s[20:21]
	v_add_u32_e32 v4, s30, v4
	v_cmp_le_i32_e32 vcc, s38, v4
	s_or_b64 s[14:15], vcc, s[14:15]
	v_add_co_u32_e32 v0, vcc, s6, v0
	v_addc_co_u32_e32 v1, vcc, v1, v3, vcc
	s_andn2_b64 exec, exec, s[14:15]
	s_cbranch_execz .LBB12_229
.LBB12_226:                             ; =>This Inner Loop Header: Depth=1
	global_load_dwordx2 v[5:6], v[0:1], off
	s_waitcnt vmcnt(0)
	v_cmp_neq_f64_e32 vcc, 0, v[5:6]
	s_and_saveexec_b64 s[20:21], vcc
	s_cbranch_execz .LBB12_225
; %bb.227:                              ;   in Loop: Header=BB12_226 Depth=1
	s_mov_b64 s[24:25], exec
	v_mbcnt_lo_u32_b32 v5, s24, 0
	v_mbcnt_hi_u32_b32 v5, s25, v5
	v_cmp_eq_u32_e32 vcc, 0, v5
	s_and_b64 s[22:23], exec, vcc
	s_mov_b64 exec, s[22:23]
	s_cbranch_execz .LBB12_225
; %bb.228:                              ;   in Loop: Header=BB12_226 Depth=1
	s_bcnt1_i32_b64 s7, s[24:25]
	v_mov_b32_e32 v5, s7
	global_atomic_add v2, v5, s[4:5]
	s_branch .LBB12_225
.LBB12_229:
	s_or_b64 exec, exec, s[2:3]
	s_cmp_lt_i32 s28, 2
	s_cbranch_scc1 .LBB12_242
; %bb.230:
	s_add_u32 s2, s16, s34
	s_addc_u32 s3, s17, s35
	v_readlane_b32 s6, v62, 0
	s_add_u32 s2, s2, 8
	v_readlane_b32 s7, v62, 1
	s_addc_u32 s3, s3, 0
	s_lshl_b64 s[4:5], s[12:13], 3
	s_lshl_b64 s[6:7], s[6:7], 3
	s_add_u32 s4, s4, s6
	s_addc_u32 s5, s5, s7
	s_add_u32 s10, s8, s4
	s_addc_u32 s16, s9, s5
	s_mov_b32 s4, 1
	v_mov_b32_e32 v6, 0
	s_branch .LBB12_232
.LBB12_231:                             ;   in Loop: Header=BB12_232 Depth=1
	s_add_i32 s4, s4, 1
	s_add_u32 s2, s2, 8
	s_addc_u32 s3, s3, 0
	s_cmp_lg_u32 s4, s28
	s_waitcnt vmcnt(0)
	s_barrier
	s_cbranch_scc0 .LBB12_242
.LBB12_232:                             ; =>This Loop Header: Depth=1
                                        ;     Child Loop BB12_235 Depth 2
                                        ;     Child Loop BB12_241 Depth 2
	s_and_saveexec_b64 s[6:7], s[0:1]
	s_cbranch_execz .LBB12_239
; %bb.233:                              ;   in Loop: Header=BB12_232 Depth=1
	s_ashr_i32 s5, s4, 31
	s_add_i32 s15, s4, -1
	s_lshl_b64 s[8:9], s[4:5], 3
	s_add_u32 s8, s18, s8
	s_addc_u32 s9, s19, s9
	global_load_dwordx2 v[0:1], v6, s[8:9] offset:-8
	v_mov_b32_e32 v2, s15
	v_mov_b32_e32 v3, s15
	s_mov_b64 s[12:13], s[2:3]
	s_mov_b32 s5, s4
	s_mov_b32 s14, s15
	s_waitcnt vmcnt(0)
	ds_write2_b64 v6, v[0:1], v[2:3] offset1:2
	v_mov_b32_e32 v3, v1
	v_mov_b32_e32 v2, v0
	s_branch .LBB12_235
.LBB12_234:                             ;   in Loop: Header=BB12_235 Depth=2
	s_add_i32 s5, s5, 1
	s_add_u32 s12, s12, 8
	s_addc_u32 s13, s13, 0
	s_cmp_eq_u32 s28, s5
	s_cbranch_scc1 .LBB12_237
.LBB12_235:                             ;   Parent Loop BB12_232 Depth=1
                                        ; =>  This Inner Loop Header: Depth=2
	global_load_dwordx2 v[4:5], v6, s[12:13]
	s_waitcnt vmcnt(0)
	v_cmp_nlt_f64_e32 vcc, v[4:5], v[2:3]
	s_cbranch_vccnz .LBB12_234
; %bb.236:                              ;   in Loop: Header=BB12_235 Depth=2
	v_mov_b32_e32 v2, s5
	ds_write_b32 v6, v2 offset:20
	ds_write_b64 v6, v[4:5]
	v_mov_b32_e32 v2, v4
	s_mov_b32 s14, s5
	v_mov_b32_e32 v3, v5
	s_branch .LBB12_234
.LBB12_237:                             ;   in Loop: Header=BB12_232 Depth=1
	s_cmp_lg_u32 s14, s15
	s_cbranch_scc0 .LBB12_239
; %bb.238:                              ;   in Loop: Header=BB12_232 Depth=1
	s_ashr_i32 s15, s14, 31
	s_lshl_b64 s[12:13], s[14:15], 3
	s_add_u32 s12, s18, s12
	s_addc_u32 s13, s19, s13
	global_store_dwordx2 v6, v[0:1], s[12:13]
	global_store_dwordx2 v6, v[2:3], s[8:9] offset:-8
.LBB12_239:                             ;   in Loop: Header=BB12_232 Depth=1
	s_or_b64 exec, exec, s[6:7]
	s_waitcnt vmcnt(0) lgkmcnt(0)
	s_barrier
	ds_read_b64 v[0:1], v6 offset:16
	s_waitcnt lgkmcnt(0)
	v_readfirstlane_b32 s5, v0
	v_readfirstlane_b32 s6, v1
	s_cmp_eq_u32 s6, s5
	s_cbranch_scc1 .LBB12_231
; %bb.240:                              ;   in Loop: Header=BB12_232 Depth=1
	s_mul_i32 s6, s6, s11
	s_ashr_i32 s7, s6, 31
	s_lshl_b64 s[6:7], s[6:7], 3
	s_mul_i32 s8, s5, s11
	s_add_u32 s6, s10, s6
	s_addc_u32 s7, s16, s7
	s_ashr_i32 s9, s8, 31
	s_lshl_b64 s[8:9], s[8:9], 3
	s_add_u32 s8, s10, s8
	s_addc_u32 s9, s16, s9
	s_mov_b32 s5, s28
.LBB12_241:                             ;   Parent Loop BB12_232 Depth=1
                                        ; =>  This Inner Loop Header: Depth=2
	global_load_dwordx2 v[0:1], v6, s[6:7]
	global_load_dwordx2 v[2:3], v6, s[8:9]
	s_add_i32 s5, s5, -1
	s_waitcnt vmcnt(1)
	global_store_dwordx2 v6, v[0:1], s[8:9]
	s_waitcnt vmcnt(1)
	global_store_dwordx2 v6, v[2:3], s[6:7]
	s_add_u32 s6, s6, 8
	s_addc_u32 s7, s7, 0
	s_add_u32 s8, s8, 8
	s_addc_u32 s9, s9, 0
	s_cmp_lg_u32 s5, 0
	s_cbranch_scc1 .LBB12_241
	s_branch .LBB12_231
.LBB12_242:
	s_endpgm
	.section	.rodata,"a",@progbits
	.p2align	6, 0x0
	.amdhsa_kernel _ZN9rocsolver6v33100L12steqr_kernelIddPdEEviPT0_lS4_lT1_iilPiS4_iS3_S3_S3_
		.amdhsa_group_segment_fixed_size 48
		.amdhsa_private_segment_fixed_size 28
		.amdhsa_kernarg_size 368
		.amdhsa_user_sgpr_count 6
		.amdhsa_user_sgpr_private_segment_buffer 1
		.amdhsa_user_sgpr_dispatch_ptr 0
		.amdhsa_user_sgpr_queue_ptr 0
		.amdhsa_user_sgpr_kernarg_segment_ptr 1
		.amdhsa_user_sgpr_dispatch_id 0
		.amdhsa_user_sgpr_flat_scratch_init 0
		.amdhsa_user_sgpr_private_segment_size 0
		.amdhsa_uses_dynamic_stack 0
		.amdhsa_system_sgpr_private_segment_wavefront_offset 1
		.amdhsa_system_sgpr_workgroup_id_x 1
		.amdhsa_system_sgpr_workgroup_id_y 1
		.amdhsa_system_sgpr_workgroup_id_z 0
		.amdhsa_system_sgpr_workgroup_info 0
		.amdhsa_system_vgpr_workitem_id 0
		.amdhsa_next_free_vgpr 63
		.amdhsa_next_free_sgpr 100
		.amdhsa_reserve_vcc 1
		.amdhsa_reserve_flat_scratch 0
		.amdhsa_float_round_mode_32 0
		.amdhsa_float_round_mode_16_64 0
		.amdhsa_float_denorm_mode_32 3
		.amdhsa_float_denorm_mode_16_64 3
		.amdhsa_dx10_clamp 1
		.amdhsa_ieee_mode 1
		.amdhsa_fp16_overflow 0
		.amdhsa_exception_fp_ieee_invalid_op 0
		.amdhsa_exception_fp_denorm_src 0
		.amdhsa_exception_fp_ieee_div_zero 0
		.amdhsa_exception_fp_ieee_overflow 0
		.amdhsa_exception_fp_ieee_underflow 0
		.amdhsa_exception_fp_ieee_inexact 0
		.amdhsa_exception_int_div_zero 0
	.end_amdhsa_kernel
	.section	.text._ZN9rocsolver6v33100L12steqr_kernelIddPdEEviPT0_lS4_lT1_iilPiS4_iS3_S3_S3_,"axG",@progbits,_ZN9rocsolver6v33100L12steqr_kernelIddPdEEviPT0_lS4_lT1_iilPiS4_iS3_S3_S3_,comdat
.Lfunc_end12:
	.size	_ZN9rocsolver6v33100L12steqr_kernelIddPdEEviPT0_lS4_lT1_iilPiS4_iS3_S3_S3_, .Lfunc_end12-_ZN9rocsolver6v33100L12steqr_kernelIddPdEEviPT0_lS4_lT1_iilPiS4_iS3_S3_S3_
                                        ; -- End function
	.set _ZN9rocsolver6v33100L12steqr_kernelIddPdEEviPT0_lS4_lT1_iilPiS4_iS3_S3_S3_.num_vgpr, 63
	.set _ZN9rocsolver6v33100L12steqr_kernelIddPdEEviPT0_lS4_lT1_iilPiS4_iS3_S3_S3_.num_agpr, 0
	.set _ZN9rocsolver6v33100L12steqr_kernelIddPdEEviPT0_lS4_lT1_iilPiS4_iS3_S3_S3_.numbered_sgpr, 100
	.set _ZN9rocsolver6v33100L12steqr_kernelIddPdEEviPT0_lS4_lT1_iilPiS4_iS3_S3_S3_.num_named_barrier, 0
	.set _ZN9rocsolver6v33100L12steqr_kernelIddPdEEviPT0_lS4_lT1_iilPiS4_iS3_S3_S3_.private_seg_size, 28
	.set _ZN9rocsolver6v33100L12steqr_kernelIddPdEEviPT0_lS4_lT1_iilPiS4_iS3_S3_S3_.uses_vcc, 1
	.set _ZN9rocsolver6v33100L12steqr_kernelIddPdEEviPT0_lS4_lT1_iilPiS4_iS3_S3_S3_.uses_flat_scratch, 0
	.set _ZN9rocsolver6v33100L12steqr_kernelIddPdEEviPT0_lS4_lT1_iilPiS4_iS3_S3_S3_.has_dyn_sized_stack, 0
	.set _ZN9rocsolver6v33100L12steqr_kernelIddPdEEviPT0_lS4_lT1_iilPiS4_iS3_S3_S3_.has_recursion, 0
	.set _ZN9rocsolver6v33100L12steqr_kernelIddPdEEviPT0_lS4_lT1_iilPiS4_iS3_S3_S3_.has_indirect_call, 0
	.section	.AMDGPU.csdata,"",@progbits
; Kernel info:
; codeLenInByte = 14740
; TotalNumSgprs: 104
; NumVgprs: 63
; ScratchSize: 28
; MemoryBound: 0
; FloatMode: 240
; IeeeMode: 1
; LDSByteSize: 48 bytes/workgroup (compile time only)
; SGPRBlocks: 12
; VGPRBlocks: 15
; NumSGPRsForWavesPerEU: 104
; NumVGPRsForWavesPerEU: 63
; Occupancy: 4
; WaveLimiterHint : 0
; COMPUTE_PGM_RSRC2:SCRATCH_EN: 1
; COMPUTE_PGM_RSRC2:USER_SGPR: 6
; COMPUTE_PGM_RSRC2:TRAP_HANDLER: 0
; COMPUTE_PGM_RSRC2:TGID_X_EN: 1
; COMPUTE_PGM_RSRC2:TGID_Y_EN: 1
; COMPUTE_PGM_RSRC2:TGID_Z_EN: 0
; COMPUTE_PGM_RSRC2:TIDIG_COMP_CNT: 0
	.section	.text._ZN9rocsolver6v33100L16reset_batch_infoI19rocblas_complex_numIfEiiPS3_EEvT2_lT0_T1_,"axG",@progbits,_ZN9rocsolver6v33100L16reset_batch_infoI19rocblas_complex_numIfEiiPS3_EEvT2_lT0_T1_,comdat
	.globl	_ZN9rocsolver6v33100L16reset_batch_infoI19rocblas_complex_numIfEiiPS3_EEvT2_lT0_T1_ ; -- Begin function _ZN9rocsolver6v33100L16reset_batch_infoI19rocblas_complex_numIfEiiPS3_EEvT2_lT0_T1_
	.p2align	8
	.type	_ZN9rocsolver6v33100L16reset_batch_infoI19rocblas_complex_numIfEiiPS3_EEvT2_lT0_T1_,@function
_ZN9rocsolver6v33100L16reset_batch_infoI19rocblas_complex_numIfEiiPS3_EEvT2_lT0_T1_: ; @_ZN9rocsolver6v33100L16reset_batch_infoI19rocblas_complex_numIfEiiPS3_EEvT2_lT0_T1_
; %bb.0:
	s_load_dword s2, s[4:5], 0x24
	s_load_dwordx2 s[0:1], s[4:5], 0x10
	s_waitcnt lgkmcnt(0)
	s_and_b32 s2, s2, 0xffff
	s_mul_i32 s6, s6, s2
	v_add_u32_e32 v0, s6, v0
	v_cmp_gt_i32_e32 vcc, s0, v0
	s_and_saveexec_b64 s[2:3], vcc
	s_cbranch_execz .LBB13_2
; %bb.1:
	s_load_dwordx4 s[8:11], s[4:5], 0x0
	s_ashr_i32 s0, s7, 31
	v_ashrrev_i32_e32 v1, 31, v0
	v_lshlrev_b64 v[0:1], 3, v[0:1]
	v_cvt_f32_i32_e32 v2, s1
	s_waitcnt lgkmcnt(0)
	s_mul_hi_u32 s3, s10, s7
	s_mul_i32 s0, s10, s0
	s_mul_i32 s4, s11, s7
	s_add_i32 s0, s3, s0
	s_mul_i32 s2, s10, s7
	s_add_i32 s3, s0, s4
	s_lshl_b64 s[2:3], s[2:3], 3
	s_add_u32 s0, s8, s2
	s_addc_u32 s2, s9, s3
	v_mov_b32_e32 v3, s2
	v_add_co_u32_e32 v0, vcc, s0, v0
	v_addc_co_u32_e32 v1, vcc, v3, v1, vcc
	v_mov_b32_e32 v3, 0
	global_store_dwordx2 v[0:1], v[2:3], off
.LBB13_2:
	s_endpgm
	.section	.rodata,"a",@progbits
	.p2align	6, 0x0
	.amdhsa_kernel _ZN9rocsolver6v33100L16reset_batch_infoI19rocblas_complex_numIfEiiPS3_EEvT2_lT0_T1_
		.amdhsa_group_segment_fixed_size 0
		.amdhsa_private_segment_fixed_size 0
		.amdhsa_kernarg_size 280
		.amdhsa_user_sgpr_count 6
		.amdhsa_user_sgpr_private_segment_buffer 1
		.amdhsa_user_sgpr_dispatch_ptr 0
		.amdhsa_user_sgpr_queue_ptr 0
		.amdhsa_user_sgpr_kernarg_segment_ptr 1
		.amdhsa_user_sgpr_dispatch_id 0
		.amdhsa_user_sgpr_flat_scratch_init 0
		.amdhsa_user_sgpr_private_segment_size 0
		.amdhsa_uses_dynamic_stack 0
		.amdhsa_system_sgpr_private_segment_wavefront_offset 0
		.amdhsa_system_sgpr_workgroup_id_x 1
		.amdhsa_system_sgpr_workgroup_id_y 1
		.amdhsa_system_sgpr_workgroup_id_z 0
		.amdhsa_system_sgpr_workgroup_info 0
		.amdhsa_system_vgpr_workitem_id 0
		.amdhsa_next_free_vgpr 4
		.amdhsa_next_free_sgpr 12
		.amdhsa_reserve_vcc 1
		.amdhsa_reserve_flat_scratch 0
		.amdhsa_float_round_mode_32 0
		.amdhsa_float_round_mode_16_64 0
		.amdhsa_float_denorm_mode_32 3
		.amdhsa_float_denorm_mode_16_64 3
		.amdhsa_dx10_clamp 1
		.amdhsa_ieee_mode 1
		.amdhsa_fp16_overflow 0
		.amdhsa_exception_fp_ieee_invalid_op 0
		.amdhsa_exception_fp_denorm_src 0
		.amdhsa_exception_fp_ieee_div_zero 0
		.amdhsa_exception_fp_ieee_overflow 0
		.amdhsa_exception_fp_ieee_underflow 0
		.amdhsa_exception_fp_ieee_inexact 0
		.amdhsa_exception_int_div_zero 0
	.end_amdhsa_kernel
	.section	.text._ZN9rocsolver6v33100L16reset_batch_infoI19rocblas_complex_numIfEiiPS3_EEvT2_lT0_T1_,"axG",@progbits,_ZN9rocsolver6v33100L16reset_batch_infoI19rocblas_complex_numIfEiiPS3_EEvT2_lT0_T1_,comdat
.Lfunc_end13:
	.size	_ZN9rocsolver6v33100L16reset_batch_infoI19rocblas_complex_numIfEiiPS3_EEvT2_lT0_T1_, .Lfunc_end13-_ZN9rocsolver6v33100L16reset_batch_infoI19rocblas_complex_numIfEiiPS3_EEvT2_lT0_T1_
                                        ; -- End function
	.set _ZN9rocsolver6v33100L16reset_batch_infoI19rocblas_complex_numIfEiiPS3_EEvT2_lT0_T1_.num_vgpr, 4
	.set _ZN9rocsolver6v33100L16reset_batch_infoI19rocblas_complex_numIfEiiPS3_EEvT2_lT0_T1_.num_agpr, 0
	.set _ZN9rocsolver6v33100L16reset_batch_infoI19rocblas_complex_numIfEiiPS3_EEvT2_lT0_T1_.numbered_sgpr, 12
	.set _ZN9rocsolver6v33100L16reset_batch_infoI19rocblas_complex_numIfEiiPS3_EEvT2_lT0_T1_.num_named_barrier, 0
	.set _ZN9rocsolver6v33100L16reset_batch_infoI19rocblas_complex_numIfEiiPS3_EEvT2_lT0_T1_.private_seg_size, 0
	.set _ZN9rocsolver6v33100L16reset_batch_infoI19rocblas_complex_numIfEiiPS3_EEvT2_lT0_T1_.uses_vcc, 1
	.set _ZN9rocsolver6v33100L16reset_batch_infoI19rocblas_complex_numIfEiiPS3_EEvT2_lT0_T1_.uses_flat_scratch, 0
	.set _ZN9rocsolver6v33100L16reset_batch_infoI19rocblas_complex_numIfEiiPS3_EEvT2_lT0_T1_.has_dyn_sized_stack, 0
	.set _ZN9rocsolver6v33100L16reset_batch_infoI19rocblas_complex_numIfEiiPS3_EEvT2_lT0_T1_.has_recursion, 0
	.set _ZN9rocsolver6v33100L16reset_batch_infoI19rocblas_complex_numIfEiiPS3_EEvT2_lT0_T1_.has_indirect_call, 0
	.section	.AMDGPU.csdata,"",@progbits
; Kernel info:
; codeLenInByte = 144
; TotalNumSgprs: 16
; NumVgprs: 4
; ScratchSize: 0
; MemoryBound: 0
; FloatMode: 240
; IeeeMode: 1
; LDSByteSize: 0 bytes/workgroup (compile time only)
; SGPRBlocks: 1
; VGPRBlocks: 0
; NumSGPRsForWavesPerEU: 16
; NumVGPRsForWavesPerEU: 4
; Occupancy: 10
; WaveLimiterHint : 0
; COMPUTE_PGM_RSRC2:SCRATCH_EN: 0
; COMPUTE_PGM_RSRC2:USER_SGPR: 6
; COMPUTE_PGM_RSRC2:TRAP_HANDLER: 0
; COMPUTE_PGM_RSRC2:TGID_X_EN: 1
; COMPUTE_PGM_RSRC2:TGID_Y_EN: 1
; COMPUTE_PGM_RSRC2:TGID_Z_EN: 0
; COMPUTE_PGM_RSRC2:TIDIG_COMP_CNT: 0
	.section	.text._ZN9rocsolver6v33100L10init_identI19rocblas_complex_numIfEPS3_EEviiT0_iil,"axG",@progbits,_ZN9rocsolver6v33100L10init_identI19rocblas_complex_numIfEPS3_EEviiT0_iil,comdat
	.globl	_ZN9rocsolver6v33100L10init_identI19rocblas_complex_numIfEPS3_EEviiT0_iil ; -- Begin function _ZN9rocsolver6v33100L10init_identI19rocblas_complex_numIfEPS3_EEviiT0_iil
	.p2align	8
	.type	_ZN9rocsolver6v33100L10init_identI19rocblas_complex_numIfEPS3_EEviiT0_iil,@function
_ZN9rocsolver6v33100L10init_identI19rocblas_complex_numIfEPS3_EEviiT0_iil: ; @_ZN9rocsolver6v33100L10init_identI19rocblas_complex_numIfEPS3_EEviiT0_iil
; %bb.0:
	s_load_dword s2, s[4:5], 0x2c
	s_load_dwordx2 s[0:1], s[4:5], 0x0
	s_waitcnt lgkmcnt(0)
	s_lshr_b32 s3, s2, 16
	s_and_b32 s2, s2, 0xffff
	s_mul_i32 s6, s6, s2
	s_mul_i32 s7, s7, s3
	v_add_u32_e32 v3, s6, v0
	v_add_u32_e32 v1, s7, v1
	v_cmp_gt_u32_e32 vcc, s0, v3
	v_cmp_gt_u32_e64 s[0:1], s1, v1
	s_and_b64 s[0:1], vcc, s[0:1]
	s_and_saveexec_b64 s[2:3], s[0:1]
	s_cbranch_execz .LBB14_6
; %bb.1:
	s_load_dwordx2 s[0:1], s[4:5], 0x10
	v_cmp_ne_u32_e32 vcc, v3, v1
                                        ; implicit-def: $vgpr0
	s_and_saveexec_b64 s[2:3], vcc
	s_xor_b64 s[2:3], exec, s[2:3]
	s_cbranch_execz .LBB14_3
; %bb.2:
	s_waitcnt lgkmcnt(0)
	v_mad_u64_u32 v[0:1], s[6:7], v1, s1, v[3:4]
                                        ; implicit-def: $vgpr3
.LBB14_3:
	s_or_saveexec_b64 s[2:3], s[2:3]
	v_mov_b32_e32 v1, 0
	v_mov_b32_e32 v2, 0
	s_xor_b64 exec, exec, s[2:3]
	s_cbranch_execz .LBB14_5
; %bb.4:
	s_waitcnt lgkmcnt(0)
	v_mad_u64_u32 v[3:4], s[6:7], v3, s1, v[3:4]
	v_mov_b32_e32 v2, 1.0
	v_mov_b32_e32 v0, v3
.LBB14_5:
	s_or_b64 exec, exec, s[2:3]
	s_load_dwordx2 s[2:3], s[4:5], 0x18
	s_load_dwordx2 s[6:7], s[4:5], 0x8
	s_waitcnt lgkmcnt(0)
	s_ashr_i32 s1, s0, 31
	v_lshlrev_b64 v[3:4], 3, v[0:1]
	s_mul_i32 s3, s3, s8
	s_mul_hi_u32 s4, s2, s8
	s_mul_i32 s2, s2, s8
	s_add_i32 s3, s4, s3
	s_lshl_b64 s[2:3], s[2:3], 3
	s_add_u32 s2, s6, s2
	s_addc_u32 s3, s7, s3
	s_lshl_b64 s[0:1], s[0:1], 3
	s_add_u32 s0, s2, s0
	s_addc_u32 s1, s3, s1
	v_mov_b32_e32 v0, s1
	v_add_co_u32_e32 v5, vcc, s0, v3
	v_addc_co_u32_e32 v6, vcc, v0, v4, vcc
	v_mov_b32_e32 v3, v1
	global_store_dwordx2 v[5:6], v[2:3], off
.LBB14_6:
	s_endpgm
	.section	.rodata,"a",@progbits
	.p2align	6, 0x0
	.amdhsa_kernel _ZN9rocsolver6v33100L10init_identI19rocblas_complex_numIfEPS3_EEviiT0_iil
		.amdhsa_group_segment_fixed_size 0
		.amdhsa_private_segment_fixed_size 0
		.amdhsa_kernarg_size 288
		.amdhsa_user_sgpr_count 6
		.amdhsa_user_sgpr_private_segment_buffer 1
		.amdhsa_user_sgpr_dispatch_ptr 0
		.amdhsa_user_sgpr_queue_ptr 0
		.amdhsa_user_sgpr_kernarg_segment_ptr 1
		.amdhsa_user_sgpr_dispatch_id 0
		.amdhsa_user_sgpr_flat_scratch_init 0
		.amdhsa_user_sgpr_private_segment_size 0
		.amdhsa_uses_dynamic_stack 0
		.amdhsa_system_sgpr_private_segment_wavefront_offset 0
		.amdhsa_system_sgpr_workgroup_id_x 1
		.amdhsa_system_sgpr_workgroup_id_y 1
		.amdhsa_system_sgpr_workgroup_id_z 1
		.amdhsa_system_sgpr_workgroup_info 0
		.amdhsa_system_vgpr_workitem_id 1
		.amdhsa_next_free_vgpr 7
		.amdhsa_next_free_sgpr 9
		.amdhsa_reserve_vcc 1
		.amdhsa_reserve_flat_scratch 0
		.amdhsa_float_round_mode_32 0
		.amdhsa_float_round_mode_16_64 0
		.amdhsa_float_denorm_mode_32 3
		.amdhsa_float_denorm_mode_16_64 3
		.amdhsa_dx10_clamp 1
		.amdhsa_ieee_mode 1
		.amdhsa_fp16_overflow 0
		.amdhsa_exception_fp_ieee_invalid_op 0
		.amdhsa_exception_fp_denorm_src 0
		.amdhsa_exception_fp_ieee_div_zero 0
		.amdhsa_exception_fp_ieee_overflow 0
		.amdhsa_exception_fp_ieee_underflow 0
		.amdhsa_exception_fp_ieee_inexact 0
		.amdhsa_exception_int_div_zero 0
	.end_amdhsa_kernel
	.section	.text._ZN9rocsolver6v33100L10init_identI19rocblas_complex_numIfEPS3_EEviiT0_iil,"axG",@progbits,_ZN9rocsolver6v33100L10init_identI19rocblas_complex_numIfEPS3_EEviiT0_iil,comdat
.Lfunc_end14:
	.size	_ZN9rocsolver6v33100L10init_identI19rocblas_complex_numIfEPS3_EEviiT0_iil, .Lfunc_end14-_ZN9rocsolver6v33100L10init_identI19rocblas_complex_numIfEPS3_EEviiT0_iil
                                        ; -- End function
	.set _ZN9rocsolver6v33100L10init_identI19rocblas_complex_numIfEPS3_EEviiT0_iil.num_vgpr, 7
	.set _ZN9rocsolver6v33100L10init_identI19rocblas_complex_numIfEPS3_EEviiT0_iil.num_agpr, 0
	.set _ZN9rocsolver6v33100L10init_identI19rocblas_complex_numIfEPS3_EEviiT0_iil.numbered_sgpr, 9
	.set _ZN9rocsolver6v33100L10init_identI19rocblas_complex_numIfEPS3_EEviiT0_iil.num_named_barrier, 0
	.set _ZN9rocsolver6v33100L10init_identI19rocblas_complex_numIfEPS3_EEviiT0_iil.private_seg_size, 0
	.set _ZN9rocsolver6v33100L10init_identI19rocblas_complex_numIfEPS3_EEviiT0_iil.uses_vcc, 1
	.set _ZN9rocsolver6v33100L10init_identI19rocblas_complex_numIfEPS3_EEviiT0_iil.uses_flat_scratch, 0
	.set _ZN9rocsolver6v33100L10init_identI19rocblas_complex_numIfEPS3_EEviiT0_iil.has_dyn_sized_stack, 0
	.set _ZN9rocsolver6v33100L10init_identI19rocblas_complex_numIfEPS3_EEviiT0_iil.has_recursion, 0
	.set _ZN9rocsolver6v33100L10init_identI19rocblas_complex_numIfEPS3_EEviiT0_iil.has_indirect_call, 0
	.section	.AMDGPU.csdata,"",@progbits
; Kernel info:
; codeLenInByte = 252
; TotalNumSgprs: 13
; NumVgprs: 7
; ScratchSize: 0
; MemoryBound: 0
; FloatMode: 240
; IeeeMode: 1
; LDSByteSize: 0 bytes/workgroup (compile time only)
; SGPRBlocks: 1
; VGPRBlocks: 1
; NumSGPRsForWavesPerEU: 13
; NumVGPRsForWavesPerEU: 7
; Occupancy: 10
; WaveLimiterHint : 0
; COMPUTE_PGM_RSRC2:SCRATCH_EN: 0
; COMPUTE_PGM_RSRC2:USER_SGPR: 6
; COMPUTE_PGM_RSRC2:TRAP_HANDLER: 0
; COMPUTE_PGM_RSRC2:TGID_X_EN: 1
; COMPUTE_PGM_RSRC2:TGID_Y_EN: 1
; COMPUTE_PGM_RSRC2:TGID_Z_EN: 1
; COMPUTE_PGM_RSRC2:TIDIG_COMP_CNT: 1
	.section	.text._ZN9rocsolver6v33100L11lasr_kernelI19rocblas_complex_numIfEfPS3_iEEv13rocblas_side_14rocblas_pivot_15rocblas_direct_T2_S8_PT0_lSA_lT1_lS8_lS8_,"axG",@progbits,_ZN9rocsolver6v33100L11lasr_kernelI19rocblas_complex_numIfEfPS3_iEEv13rocblas_side_14rocblas_pivot_15rocblas_direct_T2_S8_PT0_lSA_lT1_lS8_lS8_,comdat
	.globl	_ZN9rocsolver6v33100L11lasr_kernelI19rocblas_complex_numIfEfPS3_iEEv13rocblas_side_14rocblas_pivot_15rocblas_direct_T2_S8_PT0_lSA_lT1_lS8_lS8_ ; -- Begin function _ZN9rocsolver6v33100L11lasr_kernelI19rocblas_complex_numIfEfPS3_iEEv13rocblas_side_14rocblas_pivot_15rocblas_direct_T2_S8_PT0_lSA_lT1_lS8_lS8_
	.p2align	8
	.type	_ZN9rocsolver6v33100L11lasr_kernelI19rocblas_complex_numIfEfPS3_iEEv13rocblas_side_14rocblas_pivot_15rocblas_direct_T2_S8_PT0_lSA_lT1_lS8_lS8_,@function
_ZN9rocsolver6v33100L11lasr_kernelI19rocblas_complex_numIfEfPS3_iEEv13rocblas_side_14rocblas_pivot_15rocblas_direct_T2_S8_PT0_lSA_lT1_lS8_lS8_: ; @_ZN9rocsolver6v33100L11lasr_kernelI19rocblas_complex_numIfEfPS3_iEEv13rocblas_side_14rocblas_pivot_15rocblas_direct_T2_S8_PT0_lSA_lT1_lS8_lS8_
; %bb.0:
	s_load_dword s33, s[4:5], 0x58
	s_waitcnt lgkmcnt(0)
	s_cmp_ge_u32 s7, s33
	s_cbranch_scc1 .LBB15_108
; %bb.1:
	s_load_dword s24, s[4:5], 0x48
	s_load_dwordx2 s[26:27], s[4:5], 0x68
	s_load_dwordx4 s[20:23], s[4:5], 0x38
	s_load_dwordx4 s[16:19], s[4:5], 0x0
	s_load_dword s90, s[4:5], 0x10
	s_waitcnt lgkmcnt(0)
	s_ashr_i32 s25, s24, 31
	s_and_b32 s45, s27, 0xffff
	s_mul_i32 s6, s6, s45
	s_lshl_b64 s[2:3], s[22:23], 3
	v_add_u32_e32 v0, s6, v0
	s_add_u32 s6, s20, s2
	s_addc_u32 s27, s21, s3
	s_cmpk_eq_i32 s16, 0x8d
	s_cselect_b64 s[0:1], -1, 0
	s_cmpk_eq_i32 s16, 0x8e
	s_cselect_b64 s[8:9], -1, 0
	;; [unrolled: 2-line block ×7, first 2 shown]
	s_and_b64 s[22:23], s[0:1], s[10:11]
	s_and_b64 s[30:31], s[0:1], s[14:15]
	;; [unrolled: 1-line block ×5, first 2 shown]
	s_xor_b64 s[36:37], s[0:1], -1
	s_and_b64 s[0:1], s[8:9], s[10:11]
	s_and_b64 s[10:11], s[0:1], s[40:41]
	;; [unrolled: 1-line block ×3, first 2 shown]
	s_xor_b64 s[0:1], s[0:1], -1
                                        ; implicit-def: $vgpr46 : SGPR spill to VGPR lane
	s_xor_b64 s[38:39], s[10:11], -1
	v_writelane_b32 v46, s0, 0
	v_writelane_b32 v46, s1, 1
	s_and_b64 s[0:1], s[8:9], s[14:15]
	s_and_b64 s[10:11], s[0:1], s[40:41]
	s_xor_b64 s[10:11], s[10:11], -1
	v_writelane_b32 v46, s10, 2
	s_and_b64 s[0:1], s[0:1], s[42:43]
	v_writelane_b32 v46, s11, 3
	s_xor_b64 s[0:1], s[0:1], -1
	v_writelane_b32 v46, s0, 4
	s_and_b64 s[8:9], s[8:9], s[12:13]
	v_writelane_b32 v46, s1, 5
	s_and_b64 s[0:1], s[8:9], s[40:41]
	s_xor_b64 s[0:1], s[0:1], -1
	v_writelane_b32 v46, s0, 6
	v_writelane_b32 v46, s1, 7
	v_cmp_gt_i32_e64 s[0:1], s19, v0
	s_and_b64 s[10:11], s[42:43], s[0:1]
	s_and_b64 s[8:9], s[8:9], s[10:11]
	;; [unrolled: 1-line block ×6, first 2 shown]
	v_writelane_b32 v46, s8, 8
	s_xor_b64 s[16:17], s[16:17], -1
	s_xor_b64 s[22:23], s[22:23], -1
	;; [unrolled: 1-line block ×5, first 2 shown]
	v_writelane_b32 v46, s9, 9
	s_add_i32 s91, s90, -1
	s_add_i32 s50, s90, -2
	s_load_dwordx8 s[8:15], s[4:5], 0x18
	s_cmp_gt_i32 s90, 1
	s_cselect_b64 s[52:53], -1, 0
	s_ashr_i32 s55, s19, 31
	s_add_i32 s40, s19, -2
	s_cmp_gt_i32 s19, 1
	s_mov_b32 s51, 0
	s_cselect_b64 s[56:57], -1, 0
	s_lshl_b64 s[42:43], s[50:51], 2
	s_waitcnt lgkmcnt(0)
	s_add_u32 s18, s8, s42
	s_addc_u32 s92, s9, s43
	s_lshl_b64 s[10:11], s[10:11], 2
	s_load_dword s44, s[4:5], 0x60
	v_writelane_b32 v46, s18, 10
	s_add_u32 s93, s12, s42
	s_mul_i32 s18, s25, s50
	s_mul_hi_u32 s41, s24, s50
	s_addc_u32 s94, s13, s43
	s_add_i32 s43, s41, s18
	s_mul_i32 s42, s24, s50
	s_lshl_b64 s[42:43], s[42:43], 3
	s_lshl_b64 s[14:15], s[14:15], 2
	s_load_dwordx2 s[4:5], s[4:5], 0x50
	s_add_u32 s18, s42, s2
	s_addc_u32 s41, s43, s3
	v_ashrrev_i32_e32 v1, 31, v0
	s_add_u32 s18, s20, s18
	v_lshlrev_b64 v[1:2], 3, v[0:1]
	s_waitcnt lgkmcnt(0)
	s_mul_i32 s58, s44, s45
	s_addc_u32 s41, s21, s41
	s_ashr_i32 s59, s58, 31
	v_mov_b32_e32 v3, s41
	v_add_co_u32_e32 v14, vcc, s18, v1
	s_lshl_b64 s[60:61], s[4:5], 3
	s_lshl_b64 s[62:63], s[58:59], 3
	;; [unrolled: 1-line block ×3, first 2 shown]
	v_addc_co_u32_e32 v15, vcc, v3, v2, vcc
	s_sub_u32 s59, 0, s64
	s_mul_i32 s18, s25, s91
	s_mul_hi_u32 s25, s24, s91
	s_mul_i32 s66, s24, s91
	v_add_co_u32_e32 v16, vcc, 4, v14
	s_subb_u32 s95, 0, s65
	s_add_i32 s43, s25, s18
	s_mov_b32 s42, s66
	v_addc_co_u32_e32 v17, vcc, 0, v15, vcc
	s_lshl_b64 s[42:43], s[42:43], 3
	s_add_i32 s25, s90, 1
	v_mov_b32_e32 v3, s27
	v_add_co_u32_e32 v4, vcc, s6, v1
	s_add_u32 s18, s42, s2
	v_addc_co_u32_e32 v3, vcc, v3, v2, vcc
	s_addc_u32 s41, s43, s3
	v_add_co_u32_e32 v18, vcc, 4, v4
	s_add_u32 s18, s20, s18
	v_addc_co_u32_e32 v19, vcc, 0, v3, vcc
	s_addc_u32 s41, s21, s41
	v_mov_b32_e32 v3, s41
	v_add_co_u32_e32 v4, vcc, s18, v1
	s_add_u32 s18, s2, s64
	v_addc_co_u32_e32 v3, vcc, v3, v2, vcc
	s_addc_u32 s41, s3, s65
	v_add_co_u32_e32 v20, vcc, 4, v4
	s_add_u32 s18, s20, s18
	v_addc_co_u32_e32 v21, vcc, 0, v3, vcc
	s_addc_u32 s41, s21, s41
	v_mov_b32_e32 v3, s41
	v_add_co_u32_e32 v4, vcc, s18, v1
	v_addc_co_u32_e32 v3, vcc, v3, v2, vcc
	v_mad_i64_i32 v[1:2], s[42:43], s24, v0, 0
	v_add_co_u32_e32 v22, vcc, 4, v4
	v_lshlrev_b64 v[1:2], 3, v[1:2]
	v_addc_co_u32_e32 v23, vcc, 0, v3, vcc
	s_mov_b32 s41, s51
	v_mov_b32_e32 v3, s3
	v_add_co_u32_e32 v1, vcc, s2, v1
	s_add_i32 s50, s19, -1
	s_lshl_b64 s[2:3], s[40:41], 2
	s_add_u32 s48, s8, s2
	s_addc_u32 s49, s9, s3
	s_add_u32 s46, s12, s2
	s_addc_u32 s47, s13, s3
	s_lshl_b64 s[2:3], s[40:41], 3
	s_add_u32 s2, s20, s2
	v_addc_co_u32_e32 v2, vcc, v2, v3, vcc
	s_addc_u32 s3, s21, s3
	v_mov_b32_e32 v3, s3
	v_add_co_u32_e32 v24, vcc, s2, v1
	v_addc_co_u32_e32 v25, vcc, v3, v2, vcc
	v_add_co_u32_e32 v26, vcc, 4, v24
	v_addc_co_u32_e32 v27, vcc, 0, v25, vcc
	s_mul_hi_i32 s3, s24, s58
	s_mul_i32 s2, s24, s58
	v_mov_b32_e32 v3, s21
	v_add_co_u32_e32 v4, vcc, s20, v1
	s_lshl_b64 s[68:69], s[2:3], 3
	s_add_i32 s44, s19, 1
	s_lshl_b64 s[2:3], s[50:51], 3
	v_addc_co_u32_e32 v3, vcc, v3, v2, vcc
	s_add_u32 s2, s20, s2
	v_add_co_u32_e32 v28, vcc, 4, v4
	s_addc_u32 s3, s21, s3
	v_addc_co_u32_e32 v29, vcc, 0, v3, vcc
	v_mov_b32_e32 v5, s3
	v_add_co_u32_e32 v1, vcc, s2, v1
	v_addc_co_u32_e32 v2, vcc, v5, v2, vcc
	v_add_co_u32_e32 v30, vcc, 4, v1
	v_addc_co_u32_e32 v31, vcc, 0, v2, vcc
	;; [unrolled: 2-line block ×4, first 2 shown]
	s_mul_hi_i32 s67, s24, s91
	s_mov_b32 s54, s19
	v_mov_b32_e32 v36, 0
	v_cmp_gt_i32_e64 s[2:3], s90, v0
	s_branch .LBB15_4
.LBB15_2:                               ;   in Loop: Header=BB15_4 Depth=1
	s_or_b64 exec, exec, s[72:73]
.LBB15_3:                               ;   in Loop: Header=BB15_4 Depth=1
	s_add_i32 s7, s7, s26
	s_cmp_ge_u32 s7, s33
	s_cbranch_scc1 .LBB15_108
.LBB15_4:                               ; =>This Loop Header: Depth=1
                                        ;     Child Loop BB15_19 Depth 2
                                        ;       Child Loop BB15_20 Depth 3
                                        ;     Child Loop BB15_26 Depth 2
                                        ;       Child Loop BB15_27 Depth 3
	;; [unrolled: 2-line block ×12, first 2 shown]
	s_mul_i32 s18, s15, s7
	s_mul_hi_u32 s20, s14, s7
	s_add_i32 s40, s20, s18
	s_mul_i32 s41, s14, s7
	s_add_u32 s20, s12, s41
	s_mul_i32 s18, s11, s7
	s_mul_hi_u32 s42, s10, s7
	s_addc_u32 s21, s13, s40
	s_add_i32 s78, s42, s18
	s_mul_i32 s79, s10, s7
	s_add_u32 s70, s8, s79
	s_mul_i32 s18, s61, s7
	s_mul_hi_u32 s42, s60, s7
	s_addc_u32 s71, s9, s78
	s_add_i32 s42, s42, s18
	s_mul_i32 s18, s5, s7
	s_mul_hi_u32 s45, s4, s7
	s_add_i32 s73, s45, s18
	s_mul_i32 s72, s4, s7
	s_lshl_b64 s[72:73], s[72:73], 3
	s_add_u32 s45, s6, s72
	s_mul_i32 s43, s60, s7
	s_addc_u32 s51, s27, s73
	s_and_b64 vcc, exec, s[16:17]
	s_mov_b64 s[72:73], -1
	s_cbranch_vccnz .LBB15_6
; %bb.5:                                ;   in Loop: Header=BB15_4 Depth=1
	s_andn2_b64 vcc, exec, s[72:73]
	s_cbranch_vccnz .LBB15_3
	s_branch .LBB15_103
.LBB15_6:                               ;   in Loop: Header=BB15_4 Depth=1
	s_add_u32 s72, s48, s79
	s_addc_u32 s73, s49, s78
	s_add_u32 s74, s46, s41
	s_addc_u32 s75, s47, s40
	s_mov_b64 s[76:77], -1
	s_and_b64 vcc, exec, s[22:23]
	s_cbranch_vccz .LBB15_95
; %bb.7:                                ;   in Loop: Header=BB15_4 Depth=1
	s_and_b64 vcc, exec, s[28:29]
	s_cbranch_vccz .LBB15_87
; %bb.8:                                ;   in Loop: Header=BB15_4 Depth=1
	s_and_b64 vcc, exec, s[30:31]
	s_cbranch_vccz .LBB15_79
; %bb.9:                                ;   in Loop: Header=BB15_4 Depth=1
	s_and_b64 vcc, exec, s[34:35]
	s_cbranch_vccz .LBB15_71
; %bb.10:                               ;   in Loop: Header=BB15_4 Depth=1
	s_and_b64 vcc, exec, s[36:37]
	s_cbranch_vccz .LBB15_63
; %bb.11:                               ;   in Loop: Header=BB15_4 Depth=1
	v_mov_b32_e32 v2, s42
	v_add_co_u32_e32 v1, vcc, s43, v18
	v_addc_co_u32_e32 v2, vcc, v19, v2, vcc
	s_and_b64 vcc, exec, s[38:39]
	s_cbranch_vccz .LBB15_55
; %bb.12:                               ;   in Loop: Header=BB15_4 Depth=1
	v_readlane_b32 s18, v46, 10
	s_add_u32 s76, s18, s79
	s_addc_u32 s77, s92, s78
	s_add_u32 s78, s93, s41
	v_mov_b32_e32 v4, s42
	v_add_co_u32_e32 v3, vcc, s43, v20
	s_addc_u32 s79, s94, s40
	v_readlane_b32 s40, v46, 0
	v_addc_co_u32_e32 v4, vcc, v21, v4, vcc
	v_readlane_b32 s41, v46, 1
	s_mov_b64 s[80:81], -1
	s_and_b64 vcc, exec, s[40:41]
	s_cbranch_vccz .LBB15_46
; %bb.13:                               ;   in Loop: Header=BB15_4 Depth=1
	v_readlane_b32 s40, v46, 2
	v_readlane_b32 s41, v46, 3
	s_and_b64 vcc, exec, s[40:41]
	s_cbranch_vccz .LBB15_38
; %bb.14:                               ;   in Loop: Header=BB15_4 Depth=1
	v_readlane_b32 s40, v46, 4
	v_readlane_b32 s41, v46, 5
	;; [unrolled: 5-line block ×3, first 2 shown]
	s_and_b64 vcc, exec, s[40:41]
	s_cbranch_vccz .LBB15_22
; %bb.16:                               ;   in Loop: Header=BB15_4 Depth=1
	s_mov_b64 s[80:81], exec
	v_readlane_b32 s40, v46, 8
	v_readlane_b32 s41, v46, 9
	s_and_b64 s[40:41], s[80:81], s[40:41]
	s_mov_b64 exec, s[40:41]
	s_cbranch_execz .LBB15_21
; %bb.17:                               ;   in Loop: Header=BB15_4 Depth=1
	s_lshl_b64 s[40:41], s[66:67], 3
	v_mov_b32_e32 v6, s42
	v_add_co_u32_e32 v5, vcc, s43, v16
	s_add_u32 s40, s45, s40
	v_addc_co_u32_e32 v6, vcc, v17, v6, vcc
	s_addc_u32 s41, s51, s41
	s_mov_b64 s[82:83], 0
	v_mov_b32_e32 v7, v0
	s_branch .LBB15_19
.LBB15_18:                              ;   in Loop: Header=BB15_19 Depth=2
	v_add_u32_e32 v7, s58, v7
	v_cmp_le_i32_e32 vcc, s19, v7
	s_waitcnt vmcnt(0)
	global_store_dwordx2 v[8:9], v[10:11], off
	v_mov_b32_e32 v8, s63
	s_or_b64 s[82:83], vcc, s[82:83]
	v_add_co_u32_e32 v5, vcc, s62, v5
	v_addc_co_u32_e32 v6, vcc, v6, v8, vcc
	s_andn2_b64 exec, exec, s[82:83]
	s_cbranch_execz .LBB15_21
.LBB15_19:                              ;   Parent Loop BB15_4 Depth=1
                                        ; =>  This Loop Header: Depth=2
                                        ;       Child Loop BB15_20 Depth 3
	v_ashrrev_i32_e32 v8, 31, v7
	v_lshlrev_b64 v[8:9], 3, v[7:8]
	v_mov_b32_e32 v10, s41
	v_add_co_u32_e32 v8, vcc, s40, v8
	v_addc_co_u32_e32 v9, vcc, v10, v9, vcc
	global_load_dwordx2 v[10:11], v[8:9], off
	v_mov_b32_e32 v13, v6
	s_andn2_b64 vcc, exec, s[52:53]
	v_mov_b32_e32 v12, v5
	s_mov_b64 s[84:85], s[78:79]
	s_mov_b64 s[86:87], s[76:77]
	s_mov_b32 s18, s91
	s_cbranch_vccnz .LBB15_18
.LBB15_20:                              ;   Parent Loop BB15_4 Depth=1
                                        ;     Parent Loop BB15_19 Depth=2
                                        ; =>    This Inner Loop Header: Depth=3
	global_load_dwordx2 v[37:38], v[12:13], off offset:-4
	global_load_dword v41, v36, s[86:87]
	global_load_dword v42, v36, s[84:85]
	s_add_i32 s18, s18, -1
	s_add_u32 s86, s86, -4
	s_addc_u32 s87, s87, -1
	s_add_u32 s84, s84, -4
	v_mov_b32_e32 v43, s95
	s_addc_u32 s85, s85, -1
	s_cmp_eq_u32 s18, 0
	s_waitcnt vmcnt(1)
	v_mul_f32_e32 v39, v41, v37
	v_mul_f32_e32 v40, v41, v38
	s_waitcnt vmcnt(0)
	v_fmac_f32_e32 v39, v10, v42
	v_fmac_f32_e32 v40, v11, v42
	v_mul_f32_e32 v37, v42, v37
	v_mul_f32_e32 v38, v42, v38
	global_store_dwordx2 v[12:13], v[39:40], off offset:-4
	v_add_co_u32_e32 v12, vcc, s59, v12
	v_fma_f32 v10, v10, v41, -v37
	v_fma_f32 v11, v11, v41, -v38
	v_addc_co_u32_e32 v13, vcc, v13, v43, vcc
	s_cbranch_scc0 .LBB15_20
	s_branch .LBB15_18
.LBB15_21:                              ;   in Loop: Header=BB15_4 Depth=1
	s_or_b64 exec, exec, s[80:81]
	s_mov_b64 s[80:81], 0
.LBB15_22:                              ;   in Loop: Header=BB15_4 Depth=1
	s_andn2_b64 vcc, exec, s[80:81]
	s_cbranch_vccnz .LBB15_29
; %bb.23:                               ;   in Loop: Header=BB15_4 Depth=1
	s_and_saveexec_b64 s[80:81], s[0:1]
	s_cbranch_execz .LBB15_28
; %bb.24:                               ;   in Loop: Header=BB15_4 Depth=1
	s_lshl_b64 s[40:41], s[66:67], 3
	s_add_u32 s40, s45, s40
	v_mov_b32_e32 v6, v2
	s_addc_u32 s41, s51, s41
	s_mov_b64 s[82:83], 0
	v_mov_b32_e32 v5, v1
	v_mov_b32_e32 v7, v0
	s_branch .LBB15_26
.LBB15_25:                              ;   in Loop: Header=BB15_26 Depth=2
	v_add_u32_e32 v7, s58, v7
	v_cmp_le_i32_e32 vcc, s19, v7
	s_waitcnt vmcnt(0)
	global_store_dwordx2 v[8:9], v[10:11], off
	v_mov_b32_e32 v8, s63
	s_or_b64 s[82:83], vcc, s[82:83]
	v_add_co_u32_e32 v5, vcc, s62, v5
	v_addc_co_u32_e32 v6, vcc, v6, v8, vcc
	s_andn2_b64 exec, exec, s[82:83]
	s_cbranch_execz .LBB15_28
.LBB15_26:                              ;   Parent Loop BB15_4 Depth=1
                                        ; =>  This Loop Header: Depth=2
                                        ;       Child Loop BB15_27 Depth 3
	v_ashrrev_i32_e32 v8, 31, v7
	v_lshlrev_b64 v[8:9], 3, v[7:8]
	v_mov_b32_e32 v10, s41
	v_add_co_u32_e32 v8, vcc, s40, v8
	v_addc_co_u32_e32 v9, vcc, v10, v9, vcc
	global_load_dwordx2 v[10:11], v[8:9], off
	v_mov_b32_e32 v13, v6
	s_andn2_b64 vcc, exec, s[52:53]
	v_mov_b32_e32 v12, v5
	s_mov_b64 s[84:85], s[20:21]
	s_mov_b64 s[86:87], s[70:71]
	s_mov_b32 s18, s91
	s_cbranch_vccnz .LBB15_25
.LBB15_27:                              ;   Parent Loop BB15_4 Depth=1
                                        ;     Parent Loop BB15_26 Depth=2
                                        ; =>    This Inner Loop Header: Depth=3
	global_load_dwordx2 v[37:38], v[12:13], off offset:-4
	global_load_dword v41, v36, s[86:87]
	global_load_dword v42, v36, s[84:85]
	s_add_i32 s18, s18, -1
	s_add_u32 s86, s86, 4
	s_addc_u32 s87, s87, 0
	s_add_u32 s84, s84, 4
	v_mov_b32_e32 v43, s65
	s_addc_u32 s85, s85, 0
	s_cmp_eq_u32 s18, 0
	s_waitcnt vmcnt(1)
	v_mul_f32_e32 v39, v41, v37
	v_mul_f32_e32 v40, v41, v38
	s_waitcnt vmcnt(0)
	v_fmac_f32_e32 v39, v10, v42
	v_fmac_f32_e32 v40, v11, v42
	v_mul_f32_e32 v37, v42, v37
	v_mul_f32_e32 v38, v42, v38
	global_store_dwordx2 v[12:13], v[39:40], off offset:-4
	v_add_co_u32_e32 v12, vcc, s64, v12
	v_fma_f32 v10, v10, v41, -v37
	v_fma_f32 v11, v11, v41, -v38
	v_addc_co_u32_e32 v13, vcc, v13, v43, vcc
	s_cbranch_scc0 .LBB15_27
	s_branch .LBB15_25
.LBB15_28:                              ;   in Loop: Header=BB15_4 Depth=1
	s_or_b64 exec, exec, s[80:81]
.LBB15_29:                              ;   in Loop: Header=BB15_4 Depth=1
	s_mov_b64 s[80:81], 0
.LBB15_30:                              ;   in Loop: Header=BB15_4 Depth=1
	s_andn2_b64 vcc, exec, s[80:81]
	s_cbranch_vccnz .LBB15_37
; %bb.31:                               ;   in Loop: Header=BB15_4 Depth=1
	s_and_saveexec_b64 s[80:81], s[0:1]
	s_cbranch_execz .LBB15_36
; %bb.32:                               ;   in Loop: Header=BB15_4 Depth=1
	v_mov_b32_e32 v6, v4
	s_mov_b64 s[82:83], 0
	v_mov_b32_e32 v5, v3
	v_mov_b32_e32 v7, v0
	s_branch .LBB15_34
.LBB15_33:                              ;   in Loop: Header=BB15_34 Depth=2
	v_add_u32_e32 v7, s58, v7
	v_cmp_le_i32_e32 vcc, s19, v7
	s_waitcnt vmcnt(0)
	global_store_dwordx2 v[8:9], v[12:13], off
	v_mov_b32_e32 v8, s63
	s_or_b64 s[82:83], vcc, s[82:83]
	v_add_co_u32_e32 v5, vcc, s62, v5
	v_addc_co_u32_e32 v6, vcc, v6, v8, vcc
	s_andn2_b64 exec, exec, s[82:83]
	s_cbranch_execz .LBB15_36
.LBB15_34:                              ;   Parent Loop BB15_4 Depth=1
                                        ; =>  This Loop Header: Depth=2
                                        ;       Child Loop BB15_35 Depth 3
	v_ashrrev_i32_e32 v8, 31, v7
	v_lshlrev_b64 v[8:9], 3, v[7:8]
	v_mov_b32_e32 v10, s51
	v_add_co_u32_e32 v8, vcc, s45, v8
	v_addc_co_u32_e32 v9, vcc, v10, v9, vcc
	global_load_dwordx2 v[12:13], v[8:9], off
	v_mov_b32_e32 v11, v6
	s_andn2_b64 vcc, exec, s[52:53]
	v_mov_b32_e32 v10, v5
	s_mov_b64 s[84:85], s[78:79]
	s_mov_b64 s[86:87], s[76:77]
	s_mov_b32 s18, s25
	s_cbranch_vccnz .LBB15_33
.LBB15_35:                              ;   Parent Loop BB15_4 Depth=1
                                        ;     Parent Loop BB15_34 Depth=2
                                        ; =>    This Inner Loop Header: Depth=3
	global_load_dword v39, v36, s[84:85]
	global_load_dwordx2 v[37:38], v[10:11], off offset:-4
	global_load_dword v40, v36, s[86:87]
	s_add_i32 s18, s18, -1
	s_waitcnt vmcnt(3)
	v_mov_b32_e32 v41, v13
	v_mov_b32_e32 v42, v12
	s_add_u32 s86, s86, -4
	s_addc_u32 s87, s87, -1
	s_add_u32 s84, s84, -4
	v_mov_b32_e32 v43, s95
	s_addc_u32 s85, s85, -1
	s_cmp_lt_u32 s18, 3
	s_waitcnt vmcnt(2)
	v_mul_f32_e32 v44, v42, v39
	v_mul_f32_e32 v45, v41, v39
	s_waitcnt vmcnt(1)
	v_mul_f32_e32 v12, v39, v37
	v_mul_f32_e32 v13, v39, v38
	s_waitcnt vmcnt(0)
	v_fma_f32 v37, v40, v37, -v44
	v_fma_f32 v38, v40, v38, -v45
	global_store_dwordx2 v[10:11], v[37:38], off offset:-4
	v_add_co_u32_e32 v10, vcc, s59, v10
	v_fmac_f32_e32 v12, v42, v40
	v_fmac_f32_e32 v13, v41, v40
	v_addc_co_u32_e32 v11, vcc, v11, v43, vcc
	s_cbranch_scc0 .LBB15_35
	s_branch .LBB15_33
.LBB15_36:                              ;   in Loop: Header=BB15_4 Depth=1
	s_or_b64 exec, exec, s[80:81]
.LBB15_37:                              ;   in Loop: Header=BB15_4 Depth=1
	s_mov_b64 s[80:81], 0
.LBB15_38:                              ;   in Loop: Header=BB15_4 Depth=1
	s_andn2_b64 vcc, exec, s[80:81]
	s_cbranch_vccnz .LBB15_45
; %bb.39:                               ;   in Loop: Header=BB15_4 Depth=1
	s_and_saveexec_b64 s[80:81], s[0:1]
	s_cbranch_execz .LBB15_44
; %bb.40:                               ;   in Loop: Header=BB15_4 Depth=1
	v_mov_b32_e32 v6, s42
	v_add_co_u32_e32 v5, vcc, s43, v22
	v_addc_co_u32_e32 v6, vcc, v23, v6, vcc
	s_mov_b64 s[82:83], 0
	v_mov_b32_e32 v7, v0
	s_branch .LBB15_42
.LBB15_41:                              ;   in Loop: Header=BB15_42 Depth=2
	v_add_u32_e32 v7, s58, v7
	v_cmp_le_i32_e32 vcc, s19, v7
	s_waitcnt vmcnt(0)
	global_store_dwordx2 v[8:9], v[12:13], off
	v_mov_b32_e32 v8, s63
	s_or_b64 s[82:83], vcc, s[82:83]
	v_add_co_u32_e32 v5, vcc, s62, v5
	v_addc_co_u32_e32 v6, vcc, v6, v8, vcc
	s_andn2_b64 exec, exec, s[82:83]
	s_cbranch_execz .LBB15_44
.LBB15_42:                              ;   Parent Loop BB15_4 Depth=1
                                        ; =>  This Loop Header: Depth=2
                                        ;       Child Loop BB15_43 Depth 3
	v_ashrrev_i32_e32 v8, 31, v7
	v_lshlrev_b64 v[8:9], 3, v[7:8]
	v_mov_b32_e32 v10, s51
	v_add_co_u32_e32 v8, vcc, s45, v8
	v_addc_co_u32_e32 v9, vcc, v10, v9, vcc
	global_load_dwordx2 v[12:13], v[8:9], off
	v_mov_b32_e32 v11, v6
	s_andn2_b64 vcc, exec, s[52:53]
	v_mov_b32_e32 v10, v5
	s_mov_b32 s18, s91
	s_mov_b64 s[84:85], s[70:71]
	s_mov_b64 s[86:87], s[20:21]
	s_cbranch_vccnz .LBB15_41
.LBB15_43:                              ;   Parent Loop BB15_4 Depth=1
                                        ;     Parent Loop BB15_42 Depth=2
                                        ; =>    This Inner Loop Header: Depth=3
	global_load_dword v39, v36, s[86:87]
	global_load_dwordx2 v[37:38], v[10:11], off offset:-4
	global_load_dword v40, v36, s[84:85]
	s_waitcnt vmcnt(3)
	v_mov_b32_e32 v41, v13
	v_mov_b32_e32 v42, v12
	s_add_u32 s86, s86, 4
	s_addc_u32 s87, s87, 0
	s_add_u32 s84, s84, 4
	v_mov_b32_e32 v43, s65
	s_addc_u32 s85, s85, 0
	s_add_i32 s18, s18, -1
	s_cmp_eq_u32 s18, 0
	s_waitcnt vmcnt(2)
	v_mul_f32_e32 v44, v42, v39
	v_mul_f32_e32 v45, v41, v39
	s_waitcnt vmcnt(1)
	v_mul_f32_e32 v12, v39, v37
	v_mul_f32_e32 v13, v39, v38
	s_waitcnt vmcnt(0)
	v_fma_f32 v37, v40, v37, -v44
	v_fma_f32 v38, v40, v38, -v45
	global_store_dwordx2 v[10:11], v[37:38], off offset:-4
	v_add_co_u32_e32 v10, vcc, s64, v10
	v_fmac_f32_e32 v12, v42, v40
	v_fmac_f32_e32 v13, v41, v40
	v_addc_co_u32_e32 v11, vcc, v11, v43, vcc
	s_cbranch_scc0 .LBB15_43
	s_branch .LBB15_41
.LBB15_44:                              ;   in Loop: Header=BB15_4 Depth=1
	s_or_b64 exec, exec, s[80:81]
.LBB15_45:                              ;   in Loop: Header=BB15_4 Depth=1
	s_mov_b64 s[80:81], 0
.LBB15_46:                              ;   in Loop: Header=BB15_4 Depth=1
	s_andn2_b64 vcc, exec, s[80:81]
	s_cbranch_vccnz .LBB15_54
; %bb.47:                               ;   in Loop: Header=BB15_4 Depth=1
	s_and_saveexec_b64 s[80:81], s[0:1]
	s_cbranch_execz .LBB15_53
; %bb.48:                               ;   in Loop: Header=BB15_4 Depth=1
	s_lshl_b64 s[40:41], s[66:67], 3
	v_mov_b32_e32 v5, s42
	v_add_co_u32_e32 v10, vcc, s43, v14
	s_add_u32 s40, s45, s40
	v_addc_co_u32_e32 v11, vcc, v15, v5, vcc
	s_addc_u32 s41, s51, s41
	s_mov_b64 s[82:83], 0
	v_mov_b32_e32 v5, v0
	s_branch .LBB15_50
.LBB15_49:                              ;   in Loop: Header=BB15_50 Depth=2
	v_mov_b32_e32 v12, s51
	v_add_co_u32_e32 v6, vcc, s45, v6
	v_addc_co_u32_e32 v7, vcc, v12, v7, vcc
	s_waitcnt vmcnt(0)
	global_store_dwordx2 v[6:7], v[8:9], off
	v_mov_b32_e32 v6, s63
	v_add_co_u32_e32 v10, vcc, s62, v10
	v_add_u32_e32 v5, s58, v5
	v_addc_co_u32_e32 v11, vcc, v11, v6, vcc
	v_cmp_le_i32_e32 vcc, s19, v5
	s_or_b64 s[82:83], vcc, s[82:83]
	v_add_co_u32_e32 v3, vcc, s62, v3
	v_addc_co_u32_e32 v4, vcc, v4, v6, vcc
	s_andn2_b64 exec, exec, s[82:83]
	s_cbranch_execz .LBB15_53
.LBB15_50:                              ;   Parent Loop BB15_4 Depth=1
                                        ; =>  This Loop Header: Depth=2
                                        ;       Child Loop BB15_52 Depth 3
	v_ashrrev_i32_e32 v6, 31, v5
	v_lshlrev_b64 v[6:7], 3, v[5:6]
	v_mov_b32_e32 v9, s41
	v_add_co_u32_e32 v8, vcc, s40, v6
	v_addc_co_u32_e32 v9, vcc, v9, v7, vcc
	global_load_dwordx2 v[8:9], v[8:9], off
	s_andn2_b64 vcc, exec, s[52:53]
	s_cbranch_vccnz .LBB15_49
; %bb.51:                               ;   in Loop: Header=BB15_50 Depth=2
	s_mov_b64 s[84:85], 0
	s_mov_b64 s[86:87], s[78:79]
	;; [unrolled: 1-line block ×3, first 2 shown]
	s_mov_b32 s18, s91
.LBB15_52:                              ;   Parent Loop BB15_4 Depth=1
                                        ;     Parent Loop BB15_50 Depth=2
                                        ; =>    This Inner Loop Header: Depth=3
	v_mov_b32_e32 v38, s85
	v_add_co_u32_e32 v12, vcc, s84, v10
	v_addc_co_u32_e32 v13, vcc, v11, v38, vcc
	global_load_dword v39, v36, s[86:87]
	s_nop 0
	global_load_dwordx2 v[12:13], v[12:13], off
	s_nop 0
	global_load_dword v40, v36, s[88:89]
	s_add_i32 s18, s18, -1
	v_add_co_u32_e32 v37, vcc, s84, v3
	s_sub_u32 s84, s84, s64
	s_subb_u32 s85, s85, s65
	s_add_u32 s88, s88, -4
	s_addc_u32 s89, s89, -1
	s_add_u32 s86, s86, -4
	s_waitcnt vmcnt(3)
	v_mov_b32_e32 v41, v9
	v_mov_b32_e32 v42, v8
	s_addc_u32 s87, s87, -1
	v_addc_co_u32_e32 v38, vcc, v4, v38, vcc
	s_cmp_eq_u32 s18, 0
	s_waitcnt vmcnt(1)
	v_mul_f32_e32 v43, v39, v12
	v_mul_f32_e32 v44, v39, v13
	s_waitcnt vmcnt(0)
	v_mul_f32_e32 v8, v40, v12
	v_mul_f32_e32 v9, v40, v13
	v_fma_f32 v12, v42, v40, -v43
	v_fma_f32 v13, v41, v40, -v44
	v_fmac_f32_e32 v8, v42, v39
	v_fmac_f32_e32 v9, v41, v39
	global_store_dwordx2 v[37:38], v[12:13], off offset:-4
	s_cbranch_scc0 .LBB15_52
	s_branch .LBB15_49
.LBB15_53:                              ;   in Loop: Header=BB15_4 Depth=1
	s_or_b64 exec, exec, s[80:81]
.LBB15_54:                              ;   in Loop: Header=BB15_4 Depth=1
	s_mov_b64 s[76:77], 0
.LBB15_55:                              ;   in Loop: Header=BB15_4 Depth=1
	s_andn2_b64 vcc, exec, s[76:77]
	s_cbranch_vccnz .LBB15_62
; %bb.56:                               ;   in Loop: Header=BB15_4 Depth=1
	s_and_saveexec_b64 s[76:77], s[0:1]
	s_cbranch_execz .LBB15_61
; %bb.57:                               ;   in Loop: Header=BB15_4 Depth=1
	s_lshl_b64 s[40:41], s[66:67], 3
	s_add_u32 s40, s45, s40
	s_addc_u32 s41, s51, s41
	s_mov_b64 s[78:79], 0
	v_mov_b32_e32 v3, v0
	s_branch .LBB15_59
.LBB15_58:                              ;   in Loop: Header=BB15_59 Depth=2
	v_mov_b32_e32 v8, s41
	v_add_co_u32_e32 v4, vcc, s40, v4
	v_addc_co_u32_e32 v5, vcc, v8, v5, vcc
	v_add_u32_e32 v3, s58, v3
	v_cmp_le_i32_e32 vcc, s19, v3
	s_waitcnt vmcnt(0)
	global_store_dwordx2 v[4:5], v[6:7], off
	v_mov_b32_e32 v4, s63
	s_or_b64 s[78:79], vcc, s[78:79]
	v_add_co_u32_e32 v1, vcc, s62, v1
	v_addc_co_u32_e32 v2, vcc, v2, v4, vcc
	s_andn2_b64 exec, exec, s[78:79]
	s_cbranch_execz .LBB15_61
.LBB15_59:                              ;   Parent Loop BB15_4 Depth=1
                                        ; =>  This Loop Header: Depth=2
                                        ;       Child Loop BB15_60 Depth 3
	v_ashrrev_i32_e32 v4, 31, v3
	v_lshlrev_b64 v[4:5], 3, v[3:4]
	v_mov_b32_e32 v7, s51
	v_add_co_u32_e32 v6, vcc, s45, v4
	v_addc_co_u32_e32 v7, vcc, v7, v5, vcc
	global_load_dwordx2 v[6:7], v[6:7], off
	v_mov_b32_e32 v9, v2
	s_andn2_b64 vcc, exec, s[52:53]
	s_mov_b64 s[80:81], s[20:21]
	s_mov_b64 s[82:83], s[70:71]
	v_mov_b32_e32 v8, v1
	s_mov_b32 s18, s91
	s_cbranch_vccnz .LBB15_58
.LBB15_60:                              ;   Parent Loop BB15_4 Depth=1
                                        ;     Parent Loop BB15_59 Depth=2
                                        ; =>    This Inner Loop Header: Depth=3
	v_mov_b32_e32 v11, s65
	v_add_co_u32_e32 v10, vcc, s64, v8
	global_load_dword v38, v36, s[80:81]
	v_addc_co_u32_e32 v11, vcc, v9, v11, vcc
	global_load_dwordx2 v[12:13], v[10:11], off offset:-4
	global_load_dword v39, v36, s[82:83]
	s_add_i32 s18, s18, -1
	s_add_u32 s82, s82, 4
	s_addc_u32 s83, s83, 0
	s_add_u32 s80, s80, 4
	s_addc_u32 s81, s81, 0
	s_cmp_eq_u32 s18, 0
	s_waitcnt vmcnt(2)
	v_mul_f32_e32 v40, v6, v38
	v_mul_f32_e32 v41, v7, v38
	s_waitcnt vmcnt(1)
	v_mul_f32_e32 v37, v38, v12
	v_mul_f32_e32 v38, v38, v13
	s_waitcnt vmcnt(0)
	v_fmac_f32_e32 v37, v6, v39
	v_fmac_f32_e32 v38, v7, v39
	global_store_dwordx2 v[8:9], v[37:38], off offset:-4
	v_mov_b32_e32 v8, v10
	v_fma_f32 v6, v39, v12, -v40
	v_fma_f32 v7, v39, v13, -v41
	v_mov_b32_e32 v9, v11
	s_cbranch_scc0 .LBB15_60
	s_branch .LBB15_58
.LBB15_61:                              ;   in Loop: Header=BB15_4 Depth=1
	s_or_b64 exec, exec, s[76:77]
.LBB15_62:                              ;   in Loop: Header=BB15_4 Depth=1
	s_mov_b64 s[76:77], 0
.LBB15_63:                              ;   in Loop: Header=BB15_4 Depth=1
	s_andn2_b64 vcc, exec, s[76:77]
	s_cbranch_vccnz .LBB15_70
; %bb.64:                               ;   in Loop: Header=BB15_4 Depth=1
	s_and_saveexec_b64 s[76:77], s[2:3]
	s_cbranch_execz .LBB15_69
; %bb.65:                               ;   in Loop: Header=BB15_4 Depth=1
	s_lshl_b64 s[40:41], s[54:55], 3
	v_mov_b32_e32 v2, s42
	v_add_co_u32_e32 v1, vcc, s43, v26
	s_add_u32 s40, s45, s40
	v_addc_co_u32_e32 v2, vcc, v27, v2, vcc
	s_addc_u32 s41, s51, s41
	s_mov_b64 s[78:79], 0
	v_mov_b32_e32 v9, v0
	s_branch .LBB15_67
.LBB15_66:                              ;   in Loop: Header=BB15_67 Depth=2
	v_add_u32_e32 v9, s58, v9
	v_cmp_le_i32_e32 vcc, s90, v9
	s_waitcnt vmcnt(0)
	global_store_dwordx2 v[3:4], v[5:6], off offset:-8
	v_mov_b32_e32 v3, s69
	s_or_b64 s[78:79], vcc, s[78:79]
	v_add_co_u32_e32 v1, vcc, s68, v1
	v_addc_co_u32_e32 v2, vcc, v2, v3, vcc
	s_andn2_b64 exec, exec, s[78:79]
	s_cbranch_execz .LBB15_69
.LBB15_67:                              ;   Parent Loop BB15_4 Depth=1
                                        ; =>  This Loop Header: Depth=2
                                        ;       Child Loop BB15_68 Depth 3
	v_mad_i64_i32 v[3:4], s[80:81], v9, s24, 0
	v_mov_b32_e32 v5, s41
	v_mov_b32_e32 v8, v2
	v_lshlrev_b64 v[3:4], 3, v[3:4]
	v_mov_b32_e32 v7, v1
	v_add_co_u32_e32 v3, vcc, s40, v3
	v_addc_co_u32_e32 v4, vcc, v5, v4, vcc
	global_load_dwordx2 v[5:6], v[3:4], off offset:-8
	s_andn2_b64 vcc, exec, s[56:57]
	s_mov_b64 s[80:81], s[74:75]
	s_mov_b64 s[82:83], s[72:73]
	s_mov_b32 s18, s50
	s_cbranch_vccnz .LBB15_66
.LBB15_68:                              ;   Parent Loop BB15_4 Depth=1
                                        ;     Parent Loop BB15_67 Depth=2
                                        ; =>    This Inner Loop Header: Depth=3
	global_load_dwordx2 v[10:11], v[7:8], off offset:-4
	global_load_dword v37, v36, s[82:83]
	global_load_dword v38, v36, s[80:81]
	s_add_i32 s18, s18, -1
	s_add_u32 s82, s82, -4
	s_addc_u32 s83, s83, -1
	s_add_u32 s80, s80, -4
	s_addc_u32 s81, s81, -1
	s_cmp_eq_u32 s18, 0
	s_waitcnt vmcnt(1)
	v_mul_f32_e32 v12, v37, v10
	v_mul_f32_e32 v13, v37, v11
	s_waitcnt vmcnt(0)
	v_fmac_f32_e32 v12, v5, v38
	v_fmac_f32_e32 v13, v6, v38
	v_mul_f32_e32 v10, v38, v10
	v_mul_f32_e32 v11, v38, v11
	global_store_dwordx2 v[7:8], v[12:13], off offset:-4
	v_add_co_u32_e32 v7, vcc, -8, v7
	v_fma_f32 v5, v5, v37, -v10
	v_fma_f32 v6, v6, v37, -v11
	v_addc_co_u32_e32 v8, vcc, -1, v8, vcc
	s_cbranch_scc0 .LBB15_68
	s_branch .LBB15_66
.LBB15_69:                              ;   in Loop: Header=BB15_4 Depth=1
	s_or_b64 exec, exec, s[76:77]
.LBB15_70:                              ;   in Loop: Header=BB15_4 Depth=1
	s_mov_b64 s[76:77], 0
.LBB15_71:                              ;   in Loop: Header=BB15_4 Depth=1
	s_andn2_b64 vcc, exec, s[76:77]
	s_cbranch_vccnz .LBB15_78
; %bb.72:                               ;   in Loop: Header=BB15_4 Depth=1
	s_and_saveexec_b64 s[76:77], s[2:3]
	s_cbranch_execz .LBB15_77
; %bb.73:                               ;   in Loop: Header=BB15_4 Depth=1
	s_lshl_b64 s[40:41], s[54:55], 3
	v_mov_b32_e32 v2, s42
	v_add_co_u32_e32 v1, vcc, s43, v28
	s_add_u32 s40, s45, s40
	v_addc_co_u32_e32 v2, vcc, v29, v2, vcc
	s_addc_u32 s41, s51, s41
	s_mov_b64 s[78:79], 0
	v_mov_b32_e32 v9, v0
	s_branch .LBB15_75
.LBB15_74:                              ;   in Loop: Header=BB15_75 Depth=2
	v_add_u32_e32 v9, s58, v9
	v_cmp_le_i32_e32 vcc, s90, v9
	s_waitcnt vmcnt(0)
	global_store_dwordx2 v[3:4], v[5:6], off offset:-8
	v_mov_b32_e32 v3, s69
	s_or_b64 s[78:79], vcc, s[78:79]
	v_add_co_u32_e32 v1, vcc, s68, v1
	v_addc_co_u32_e32 v2, vcc, v2, v3, vcc
	s_andn2_b64 exec, exec, s[78:79]
	s_cbranch_execz .LBB15_77
.LBB15_75:                              ;   Parent Loop BB15_4 Depth=1
                                        ; =>  This Loop Header: Depth=2
                                        ;       Child Loop BB15_76 Depth 3
	v_mad_i64_i32 v[3:4], s[80:81], v9, s24, 0
	v_mov_b32_e32 v5, s41
	v_mov_b32_e32 v8, v2
	v_lshlrev_b64 v[3:4], 3, v[3:4]
	v_mov_b32_e32 v7, v1
	v_add_co_u32_e32 v3, vcc, s40, v3
	v_addc_co_u32_e32 v4, vcc, v5, v4, vcc
	global_load_dwordx2 v[5:6], v[3:4], off offset:-8
	s_andn2_b64 vcc, exec, s[56:57]
	s_mov_b64 s[80:81], s[20:21]
	s_mov_b64 s[82:83], s[70:71]
	s_mov_b32 s18, s50
	s_cbranch_vccnz .LBB15_74
.LBB15_76:                              ;   Parent Loop BB15_4 Depth=1
                                        ;     Parent Loop BB15_75 Depth=2
                                        ; =>    This Inner Loop Header: Depth=3
	global_load_dwordx2 v[10:11], v[7:8], off offset:-4
	global_load_dword v37, v36, s[82:83]
	global_load_dword v38, v36, s[80:81]
	s_add_i32 s18, s18, -1
	s_add_u32 s82, s82, 4
	s_addc_u32 s83, s83, 0
	s_add_u32 s80, s80, 4
	s_addc_u32 s81, s81, 0
	s_cmp_eq_u32 s18, 0
	s_waitcnt vmcnt(1)
	v_mul_f32_e32 v12, v37, v10
	v_mul_f32_e32 v13, v37, v11
	s_waitcnt vmcnt(0)
	v_fmac_f32_e32 v12, v5, v38
	v_fmac_f32_e32 v13, v6, v38
	v_mul_f32_e32 v10, v38, v10
	v_mul_f32_e32 v11, v38, v11
	global_store_dwordx2 v[7:8], v[12:13], off offset:-4
	v_add_co_u32_e32 v7, vcc, 8, v7
	v_fma_f32 v5, v5, v37, -v10
	v_fma_f32 v6, v6, v37, -v11
	v_addc_co_u32_e32 v8, vcc, 0, v8, vcc
	s_cbranch_scc0 .LBB15_76
	s_branch .LBB15_74
.LBB15_77:                              ;   in Loop: Header=BB15_4 Depth=1
	s_or_b64 exec, exec, s[76:77]
.LBB15_78:                              ;   in Loop: Header=BB15_4 Depth=1
	s_mov_b64 s[76:77], 0
.LBB15_79:                              ;   in Loop: Header=BB15_4 Depth=1
	s_andn2_b64 vcc, exec, s[76:77]
	s_cbranch_vccnz .LBB15_86
; %bb.80:                               ;   in Loop: Header=BB15_4 Depth=1
	s_and_saveexec_b64 s[76:77], s[2:3]
	s_cbranch_execz .LBB15_85
; %bb.81:                               ;   in Loop: Header=BB15_4 Depth=1
	v_mov_b32_e32 v2, s42
	v_add_co_u32_e32 v1, vcc, s43, v30
	v_addc_co_u32_e32 v2, vcc, v31, v2, vcc
	s_mov_b64 s[78:79], 0
	v_mov_b32_e32 v9, v0
	s_branch .LBB15_83
.LBB15_82:                              ;   in Loop: Header=BB15_83 Depth=2
	v_add_u32_e32 v9, s58, v9
	v_cmp_le_i32_e32 vcc, s90, v9
	s_waitcnt vmcnt(0)
	global_store_dwordx2 v[3:4], v[5:6], off
	v_mov_b32_e32 v3, s69
	s_or_b64 s[78:79], vcc, s[78:79]
	v_add_co_u32_e32 v1, vcc, s68, v1
	v_addc_co_u32_e32 v2, vcc, v2, v3, vcc
	s_andn2_b64 exec, exec, s[78:79]
	s_cbranch_execz .LBB15_85
.LBB15_83:                              ;   Parent Loop BB15_4 Depth=1
                                        ; =>  This Loop Header: Depth=2
                                        ;       Child Loop BB15_84 Depth 3
	v_mad_i64_i32 v[3:4], s[40:41], v9, s24, 0
	v_mov_b32_e32 v5, s51
	v_mov_b32_e32 v8, v2
	v_lshlrev_b64 v[3:4], 3, v[3:4]
	v_mov_b32_e32 v7, v1
	v_add_co_u32_e32 v3, vcc, s45, v3
	v_addc_co_u32_e32 v4, vcc, v5, v4, vcc
	global_load_dwordx2 v[5:6], v[3:4], off
	s_andn2_b64 vcc, exec, s[56:57]
	s_mov_b64 s[80:81], s[74:75]
	s_mov_b64 s[82:83], s[72:73]
	s_mov_b32 s40, s44
	s_cbranch_vccnz .LBB15_82
.LBB15_84:                              ;   Parent Loop BB15_4 Depth=1
                                        ;     Parent Loop BB15_83 Depth=2
                                        ; =>    This Inner Loop Header: Depth=3
	global_load_dword v13, v36, s[82:83]
	global_load_dword v37, v36, s[80:81]
	global_load_dwordx2 v[10:11], v[7:8], off offset:-4
	s_add_i32 s40, s40, -1
	s_waitcnt vmcnt(3)
	v_mov_b32_e32 v12, v6
	v_mov_b32_e32 v38, v5
	s_add_u32 s82, s82, -4
	s_addc_u32 s83, s83, -1
	s_add_u32 s80, s80, -4
	s_addc_u32 s81, s81, -1
	s_cmp_lt_u32 s40, 3
	s_waitcnt vmcnt(1)
	v_mul_f32_e32 v5, v38, v37
	v_mul_f32_e32 v6, v12, v37
	s_waitcnt vmcnt(0)
	v_fma_f32 v5, v13, v10, -v5
	v_fma_f32 v6, v13, v11, -v6
	global_store_dwordx2 v[7:8], v[5:6], off offset:-4
	v_mul_f32_e32 v5, v37, v10
	v_mul_f32_e32 v6, v37, v11
	v_add_co_u32_e32 v7, vcc, -8, v7
	v_fmac_f32_e32 v5, v38, v13
	v_fmac_f32_e32 v6, v12, v13
	v_addc_co_u32_e32 v8, vcc, -1, v8, vcc
	s_cbranch_scc0 .LBB15_84
	s_branch .LBB15_82
.LBB15_85:                              ;   in Loop: Header=BB15_4 Depth=1
	s_or_b64 exec, exec, s[76:77]
.LBB15_86:                              ;   in Loop: Header=BB15_4 Depth=1
	s_mov_b64 s[76:77], 0
.LBB15_87:                              ;   in Loop: Header=BB15_4 Depth=1
	s_andn2_b64 vcc, exec, s[76:77]
	s_cbranch_vccnz .LBB15_94
; %bb.88:                               ;   in Loop: Header=BB15_4 Depth=1
	s_and_saveexec_b64 s[76:77], s[2:3]
	s_cbranch_execz .LBB15_93
; %bb.89:                               ;   in Loop: Header=BB15_4 Depth=1
	v_mov_b32_e32 v2, s42
	v_add_co_u32_e32 v1, vcc, s43, v32
	v_addc_co_u32_e32 v2, vcc, v33, v2, vcc
	s_mov_b64 s[78:79], 0
	v_mov_b32_e32 v9, v0
	s_branch .LBB15_91
.LBB15_90:                              ;   in Loop: Header=BB15_91 Depth=2
	v_add_u32_e32 v9, s58, v9
	v_cmp_le_i32_e32 vcc, s90, v9
	s_waitcnt vmcnt(0)
	global_store_dwordx2 v[3:4], v[5:6], off
	v_mov_b32_e32 v3, s69
	s_or_b64 s[78:79], vcc, s[78:79]
	v_add_co_u32_e32 v1, vcc, s68, v1
	v_addc_co_u32_e32 v2, vcc, v2, v3, vcc
	s_andn2_b64 exec, exec, s[78:79]
	s_cbranch_execz .LBB15_93
.LBB15_91:                              ;   Parent Loop BB15_4 Depth=1
                                        ; =>  This Loop Header: Depth=2
                                        ;       Child Loop BB15_92 Depth 3
	v_mad_i64_i32 v[3:4], s[40:41], v9, s24, 0
	v_mov_b32_e32 v5, s51
	v_mov_b32_e32 v8, v2
	v_lshlrev_b64 v[3:4], 3, v[3:4]
	v_mov_b32_e32 v7, v1
	v_add_co_u32_e32 v3, vcc, s45, v3
	v_addc_co_u32_e32 v4, vcc, v5, v4, vcc
	global_load_dwordx2 v[5:6], v[3:4], off
	s_andn2_b64 vcc, exec, s[56:57]
	s_mov_b32 s40, s50
	s_mov_b64 s[80:81], s[70:71]
	s_mov_b64 s[82:83], s[20:21]
	s_cbranch_vccnz .LBB15_90
.LBB15_92:                              ;   Parent Loop BB15_4 Depth=1
                                        ;     Parent Loop BB15_91 Depth=2
                                        ; =>    This Inner Loop Header: Depth=3
	global_load_dword v13, v36, s[80:81]
	global_load_dword v37, v36, s[82:83]
	global_load_dwordx2 v[10:11], v[7:8], off
	s_waitcnt vmcnt(3)
	v_mov_b32_e32 v12, v6
	v_mov_b32_e32 v38, v5
	s_add_u32 s82, s82, 4
	s_addc_u32 s83, s83, 0
	s_add_u32 s80, s80, 4
	s_addc_u32 s81, s81, 0
	s_add_i32 s40, s40, -1
	s_cmp_eq_u32 s40, 0
	s_waitcnt vmcnt(1)
	v_mul_f32_e32 v5, v38, v37
	v_mul_f32_e32 v6, v12, v37
	s_waitcnt vmcnt(0)
	v_fma_f32 v5, v13, v10, -v5
	v_fma_f32 v6, v13, v11, -v6
	global_store_dwordx2 v[7:8], v[5:6], off
	v_mul_f32_e32 v5, v37, v10
	v_mul_f32_e32 v6, v37, v11
	v_add_co_u32_e32 v7, vcc, 8, v7
	v_fmac_f32_e32 v5, v38, v13
	v_fmac_f32_e32 v6, v12, v13
	v_addc_co_u32_e32 v8, vcc, 0, v8, vcc
	s_cbranch_scc0 .LBB15_92
	s_branch .LBB15_90
.LBB15_93:                              ;   in Loop: Header=BB15_4 Depth=1
	s_or_b64 exec, exec, s[76:77]
.LBB15_94:                              ;   in Loop: Header=BB15_4 Depth=1
	s_mov_b64 s[76:77], 0
.LBB15_95:                              ;   in Loop: Header=BB15_4 Depth=1
	s_andn2_b64 vcc, exec, s[76:77]
	s_cbranch_vccnz .LBB15_102
; %bb.96:                               ;   in Loop: Header=BB15_4 Depth=1
	s_and_saveexec_b64 s[76:77], s[2:3]
	s_cbranch_execz .LBB15_101
; %bb.97:                               ;   in Loop: Header=BB15_4 Depth=1
	s_lshl_b64 s[40:41], s[54:55], 3
	v_mov_b32_e32 v2, s42
	v_add_co_u32_e32 v1, vcc, s43, v24
	s_add_u32 s40, s45, s40
	v_addc_co_u32_e32 v2, vcc, v25, v2, vcc
	s_addc_u32 s41, s51, s41
	s_mov_b64 s[78:79], 0
	v_mov_b32_e32 v9, v0
	s_branch .LBB15_99
.LBB15_98:                              ;   in Loop: Header=BB15_99 Depth=2
	v_mov_b32_e32 v5, s51
	v_add_co_u32_e32 v3, vcc, s45, v3
	v_addc_co_u32_e32 v4, vcc, v5, v4, vcc
	v_add_u32_e32 v9, s58, v9
	v_cmp_le_i32_e32 vcc, s90, v9
	s_waitcnt vmcnt(0)
	global_store_dwordx2 v[3:4], v[7:8], off
	v_mov_b32_e32 v3, s69
	s_or_b64 s[78:79], vcc, s[78:79]
	v_add_co_u32_e32 v1, vcc, s68, v1
	v_addc_co_u32_e32 v2, vcc, v2, v3, vcc
	s_andn2_b64 exec, exec, s[78:79]
	s_cbranch_execz .LBB15_101
.LBB15_99:                              ;   Parent Loop BB15_4 Depth=1
                                        ; =>  This Loop Header: Depth=2
                                        ;       Child Loop BB15_100 Depth 3
	v_mad_i64_i32 v[3:4], s[80:81], v9, s24, 0
	v_mov_b32_e32 v6, s41
	s_mov_b64 s[80:81], s[74:75]
	v_lshlrev_b64 v[3:4], 3, v[3:4]
	s_mov_b64 s[82:83], s[72:73]
	v_add_co_u32_e32 v5, vcc, s40, v3
	v_addc_co_u32_e32 v6, vcc, v6, v4, vcc
	global_load_dwordx2 v[7:8], v[5:6], off offset:-8
	v_mov_b32_e32 v6, v2
	s_andn2_b64 vcc, exec, s[56:57]
	v_mov_b32_e32 v5, v1
	s_mov_b32 s18, s50
	s_cbranch_vccnz .LBB15_98
.LBB15_100:                             ;   Parent Loop BB15_4 Depth=1
                                        ;     Parent Loop BB15_99 Depth=2
                                        ; =>    This Inner Loop Header: Depth=3
	global_load_dwordx2 v[10:11], v[5:6], off
	global_load_dword v12, v36, s[80:81]
	global_load_dword v13, v36, s[82:83]
	s_add_i32 s18, s18, -1
	s_add_u32 s82, s82, -4
	s_waitcnt vmcnt(3)
	v_mov_b32_e32 v37, v8
	v_mov_b32_e32 v38, v7
	s_addc_u32 s83, s83, -1
	s_add_u32 s80, s80, -4
	s_addc_u32 s81, s81, -1
	s_cmp_eq_u32 s18, 0
	s_waitcnt vmcnt(1)
	v_mul_f32_e32 v39, v12, v10
	v_mul_f32_e32 v40, v12, v11
	s_waitcnt vmcnt(0)
	v_mul_f32_e32 v7, v13, v10
	v_mul_f32_e32 v8, v13, v11
	v_fma_f32 v10, v38, v13, -v39
	v_fma_f32 v11, v37, v13, -v40
	global_store_dwordx2 v[5:6], v[10:11], off offset:8
	v_add_co_u32_e32 v5, vcc, -8, v5
	v_fmac_f32_e32 v7, v38, v12
	v_fmac_f32_e32 v8, v37, v12
	v_addc_co_u32_e32 v6, vcc, -1, v6, vcc
	s_cbranch_scc0 .LBB15_100
	s_branch .LBB15_98
.LBB15_101:                             ;   in Loop: Header=BB15_4 Depth=1
	s_or_b64 exec, exec, s[76:77]
.LBB15_102:                             ;   in Loop: Header=BB15_4 Depth=1
	s_cbranch_execnz .LBB15_3
.LBB15_103:                             ;   in Loop: Header=BB15_4 Depth=1
	s_and_saveexec_b64 s[72:73], s[2:3]
	s_cbranch_execz .LBB15_2
; %bb.104:                              ;   in Loop: Header=BB15_4 Depth=1
	s_lshl_b64 s[40:41], s[54:55], 3
	v_mov_b32_e32 v2, s42
	v_add_co_u32_e32 v1, vcc, s43, v34
	s_add_u32 s40, s45, s40
	v_addc_co_u32_e32 v2, vcc, v35, v2, vcc
	s_addc_u32 s41, s51, s41
	s_mov_b64 s[74:75], 0
	v_mov_b32_e32 v9, v0
	s_branch .LBB15_106
.LBB15_105:                             ;   in Loop: Header=BB15_106 Depth=2
	v_mov_b32_e32 v7, s41
	v_add_co_u32_e32 v3, vcc, s40, v3
	v_addc_co_u32_e32 v4, vcc, v7, v4, vcc
	v_add_u32_e32 v9, s58, v9
	v_cmp_le_i32_e32 vcc, s90, v9
	s_waitcnt vmcnt(0)
	global_store_dwordx2 v[3:4], v[5:6], off offset:-8
	v_mov_b32_e32 v3, s69
	s_or_b64 s[74:75], vcc, s[74:75]
	v_add_co_u32_e32 v1, vcc, s68, v1
	v_addc_co_u32_e32 v2, vcc, v2, v3, vcc
	s_andn2_b64 exec, exec, s[74:75]
	s_cbranch_execz .LBB15_2
.LBB15_106:                             ;   Parent Loop BB15_4 Depth=1
                                        ; =>  This Loop Header: Depth=2
                                        ;       Child Loop BB15_107 Depth 3
	v_mad_i64_i32 v[3:4], s[42:43], v9, s24, 0
	v_mov_b32_e32 v6, s51
	v_mov_b32_e32 v8, v2
	v_lshlrev_b64 v[3:4], 3, v[3:4]
	v_mov_b32_e32 v7, v1
	v_add_co_u32_e32 v5, vcc, s45, v3
	v_addc_co_u32_e32 v6, vcc, v6, v4, vcc
	global_load_dwordx2 v[5:6], v[5:6], off
	s_andn2_b64 vcc, exec, s[56:57]
	s_mov_b64 s[76:77], s[70:71]
	s_mov_b64 s[78:79], s[20:21]
	s_mov_b32 s42, s50
	s_cbranch_vccnz .LBB15_105
.LBB15_107:                             ;   Parent Loop BB15_4 Depth=1
                                        ;     Parent Loop BB15_106 Depth=2
                                        ; =>    This Inner Loop Header: Depth=3
	global_load_dword v37, v36, s[76:77]
	global_load_dword v38, v36, s[78:79]
	global_load_dwordx2 v[10:11], v[7:8], off offset:-4
	s_add_i32 s42, s42, -1
	s_add_u32 s78, s78, 4
	s_addc_u32 s79, s79, 0
	s_add_u32 s76, s76, 4
	s_addc_u32 s77, s77, 0
	s_cmp_eq_u32 s42, 0
	s_waitcnt vmcnt(0)
	v_mul_f32_e32 v12, v38, v10
	v_mul_f32_e32 v13, v38, v11
	v_fmac_f32_e32 v12, v5, v37
	v_fmac_f32_e32 v13, v6, v37
	global_store_dwordx2 v[7:8], v[12:13], off offset:-12
	v_mul_f32_e32 v5, v5, v38
	v_mul_f32_e32 v6, v6, v38
	v_add_co_u32_e32 v7, vcc, 8, v7
	v_fma_f32 v5, v37, v10, -v5
	v_fma_f32 v6, v37, v11, -v6
	v_addc_co_u32_e32 v8, vcc, 0, v8, vcc
	s_cbranch_scc0 .LBB15_107
	s_branch .LBB15_105
.LBB15_108:
	s_endpgm
	.section	.rodata,"a",@progbits
	.p2align	6, 0x0
	.amdhsa_kernel _ZN9rocsolver6v33100L11lasr_kernelI19rocblas_complex_numIfEfPS3_iEEv13rocblas_side_14rocblas_pivot_15rocblas_direct_T2_S8_PT0_lSA_lT1_lS8_lS8_
		.amdhsa_group_segment_fixed_size 0
		.amdhsa_private_segment_fixed_size 0
		.amdhsa_kernarg_size 352
		.amdhsa_user_sgpr_count 6
		.amdhsa_user_sgpr_private_segment_buffer 1
		.amdhsa_user_sgpr_dispatch_ptr 0
		.amdhsa_user_sgpr_queue_ptr 0
		.amdhsa_user_sgpr_kernarg_segment_ptr 1
		.amdhsa_user_sgpr_dispatch_id 0
		.amdhsa_user_sgpr_flat_scratch_init 0
		.amdhsa_user_sgpr_private_segment_size 0
		.amdhsa_uses_dynamic_stack 0
		.amdhsa_system_sgpr_private_segment_wavefront_offset 0
		.amdhsa_system_sgpr_workgroup_id_x 1
		.amdhsa_system_sgpr_workgroup_id_y 0
		.amdhsa_system_sgpr_workgroup_id_z 1
		.amdhsa_system_sgpr_workgroup_info 0
		.amdhsa_system_vgpr_workitem_id 0
		.amdhsa_next_free_vgpr 47
		.amdhsa_next_free_sgpr 96
		.amdhsa_reserve_vcc 1
		.amdhsa_reserve_flat_scratch 0
		.amdhsa_float_round_mode_32 0
		.amdhsa_float_round_mode_16_64 0
		.amdhsa_float_denorm_mode_32 3
		.amdhsa_float_denorm_mode_16_64 3
		.amdhsa_dx10_clamp 1
		.amdhsa_ieee_mode 1
		.amdhsa_fp16_overflow 0
		.amdhsa_exception_fp_ieee_invalid_op 0
		.amdhsa_exception_fp_denorm_src 0
		.amdhsa_exception_fp_ieee_div_zero 0
		.amdhsa_exception_fp_ieee_overflow 0
		.amdhsa_exception_fp_ieee_underflow 0
		.amdhsa_exception_fp_ieee_inexact 0
		.amdhsa_exception_int_div_zero 0
	.end_amdhsa_kernel
	.section	.text._ZN9rocsolver6v33100L11lasr_kernelI19rocblas_complex_numIfEfPS3_iEEv13rocblas_side_14rocblas_pivot_15rocblas_direct_T2_S8_PT0_lSA_lT1_lS8_lS8_,"axG",@progbits,_ZN9rocsolver6v33100L11lasr_kernelI19rocblas_complex_numIfEfPS3_iEEv13rocblas_side_14rocblas_pivot_15rocblas_direct_T2_S8_PT0_lSA_lT1_lS8_lS8_,comdat
.Lfunc_end15:
	.size	_ZN9rocsolver6v33100L11lasr_kernelI19rocblas_complex_numIfEfPS3_iEEv13rocblas_side_14rocblas_pivot_15rocblas_direct_T2_S8_PT0_lSA_lT1_lS8_lS8_, .Lfunc_end15-_ZN9rocsolver6v33100L11lasr_kernelI19rocblas_complex_numIfEfPS3_iEEv13rocblas_side_14rocblas_pivot_15rocblas_direct_T2_S8_PT0_lSA_lT1_lS8_lS8_
                                        ; -- End function
	.set _ZN9rocsolver6v33100L11lasr_kernelI19rocblas_complex_numIfEfPS3_iEEv13rocblas_side_14rocblas_pivot_15rocblas_direct_T2_S8_PT0_lSA_lT1_lS8_lS8_.num_vgpr, 47
	.set _ZN9rocsolver6v33100L11lasr_kernelI19rocblas_complex_numIfEfPS3_iEEv13rocblas_side_14rocblas_pivot_15rocblas_direct_T2_S8_PT0_lSA_lT1_lS8_lS8_.num_agpr, 0
	.set _ZN9rocsolver6v33100L11lasr_kernelI19rocblas_complex_numIfEfPS3_iEEv13rocblas_side_14rocblas_pivot_15rocblas_direct_T2_S8_PT0_lSA_lT1_lS8_lS8_.numbered_sgpr, 96
	.set _ZN9rocsolver6v33100L11lasr_kernelI19rocblas_complex_numIfEfPS3_iEEv13rocblas_side_14rocblas_pivot_15rocblas_direct_T2_S8_PT0_lSA_lT1_lS8_lS8_.num_named_barrier, 0
	.set _ZN9rocsolver6v33100L11lasr_kernelI19rocblas_complex_numIfEfPS3_iEEv13rocblas_side_14rocblas_pivot_15rocblas_direct_T2_S8_PT0_lSA_lT1_lS8_lS8_.private_seg_size, 0
	.set _ZN9rocsolver6v33100L11lasr_kernelI19rocblas_complex_numIfEfPS3_iEEv13rocblas_side_14rocblas_pivot_15rocblas_direct_T2_S8_PT0_lSA_lT1_lS8_lS8_.uses_vcc, 1
	.set _ZN9rocsolver6v33100L11lasr_kernelI19rocblas_complex_numIfEfPS3_iEEv13rocblas_side_14rocblas_pivot_15rocblas_direct_T2_S8_PT0_lSA_lT1_lS8_lS8_.uses_flat_scratch, 0
	.set _ZN9rocsolver6v33100L11lasr_kernelI19rocblas_complex_numIfEfPS3_iEEv13rocblas_side_14rocblas_pivot_15rocblas_direct_T2_S8_PT0_lSA_lT1_lS8_lS8_.has_dyn_sized_stack, 0
	.set _ZN9rocsolver6v33100L11lasr_kernelI19rocblas_complex_numIfEfPS3_iEEv13rocblas_side_14rocblas_pivot_15rocblas_direct_T2_S8_PT0_lSA_lT1_lS8_lS8_.has_recursion, 0
	.set _ZN9rocsolver6v33100L11lasr_kernelI19rocblas_complex_numIfEfPS3_iEEv13rocblas_side_14rocblas_pivot_15rocblas_direct_T2_S8_PT0_lSA_lT1_lS8_lS8_.has_indirect_call, 0
	.section	.AMDGPU.csdata,"",@progbits
; Kernel info:
; codeLenInByte = 4780
; TotalNumSgprs: 100
; NumVgprs: 47
; ScratchSize: 0
; MemoryBound: 0
; FloatMode: 240
; IeeeMode: 1
; LDSByteSize: 0 bytes/workgroup (compile time only)
; SGPRBlocks: 12
; VGPRBlocks: 11
; NumSGPRsForWavesPerEU: 100
; NumVGPRsForWavesPerEU: 47
; Occupancy: 5
; WaveLimiterHint : 0
; COMPUTE_PGM_RSRC2:SCRATCH_EN: 0
; COMPUTE_PGM_RSRC2:USER_SGPR: 6
; COMPUTE_PGM_RSRC2:TRAP_HANDLER: 0
; COMPUTE_PGM_RSRC2:TGID_X_EN: 1
; COMPUTE_PGM_RSRC2:TGID_Y_EN: 0
; COMPUTE_PGM_RSRC2:TGID_Z_EN: 1
; COMPUTE_PGM_RSRC2:TIDIG_COMP_CNT: 0
	.section	.text._ZN9rocsolver6v33100L11swap_kernelI19rocblas_complex_numIfEiEEvT0_PT_S4_S6_S4_,"axG",@progbits,_ZN9rocsolver6v33100L11swap_kernelI19rocblas_complex_numIfEiEEvT0_PT_S4_S6_S4_,comdat
	.globl	_ZN9rocsolver6v33100L11swap_kernelI19rocblas_complex_numIfEiEEvT0_PT_S4_S6_S4_ ; -- Begin function _ZN9rocsolver6v33100L11swap_kernelI19rocblas_complex_numIfEiEEvT0_PT_S4_S6_S4_
	.p2align	8
	.type	_ZN9rocsolver6v33100L11swap_kernelI19rocblas_complex_numIfEiEEvT0_PT_S4_S6_S4_,@function
_ZN9rocsolver6v33100L11swap_kernelI19rocblas_complex_numIfEiEEvT0_PT_S4_S6_S4_: ; @_ZN9rocsolver6v33100L11swap_kernelI19rocblas_complex_numIfEiEEvT0_PT_S4_S6_S4_
; %bb.0:
	s_load_dword s16, s[4:5], 0x0
	s_waitcnt lgkmcnt(0)
	s_cmp_lt_i32 s16, 1
	s_cbranch_scc1 .LBB16_10
; %bb.1:
	s_load_dword s0, s[4:5], 0x28
	s_load_dword s1, s[4:5], 0x34
	s_load_dwordx2 s[2:3], s[4:5], 0x8
	s_load_dword s12, s[4:5], 0x10
	s_load_dwordx2 s[8:9], s[4:5], 0x18
	s_load_dword s10, s[4:5], 0x20
	s_waitcnt lgkmcnt(0)
	s_and_b32 s1, s1, 0xffff
	s_mul_i32 s6, s6, s1
	s_cmp_eq_u32 s12, 1
	s_mul_i32 s4, s0, s1
	s_cselect_b64 s[0:1], -1, 0
	s_cmp_eq_u32 s10, 1
	v_add_u32_e32 v0, s6, v0
	s_cselect_b64 s[6:7], -1, 0
	s_and_b64 s[14:15], s[0:1], s[6:7]
	v_cmp_gt_i32_e64 s[0:1], s16, v0
	s_mov_b64 s[6:7], -1
	s_and_b64 vcc, exec, s[14:15]
	s_cbranch_vccnz .LBB16_6
; %bb.2:
	s_and_saveexec_b64 s[6:7], s[0:1]
	s_cbranch_execz .LBB16_5
; %bb.3:
	v_mad_i64_i32 v[1:2], s[14:15], s10, v0, 0
	v_mov_b32_e32 v3, s9
	s_mul_hi_i32 s11, s10, s4
	v_lshlrev_b64 v[1:2], 3, v[1:2]
	s_mul_i32 s10, s10, s4
	v_add_co_u32_e32 v1, vcc, s8, v1
	v_addc_co_u32_e32 v2, vcc, v3, v2, vcc
	v_mad_i64_i32 v[3:4], s[14:15], s12, v0, 0
	s_mul_hi_i32 s13, s12, s4
	s_mul_i32 s12, s12, s4
	v_lshlrev_b64 v[3:4], 3, v[3:4]
	s_lshl_b64 s[10:11], s[10:11], 3
	v_mov_b32_e32 v5, s3
	v_add_co_u32_e32 v3, vcc, s2, v3
	s_lshl_b64 s[12:13], s[12:13], 3
	v_addc_co_u32_e32 v4, vcc, v5, v4, vcc
	s_mov_b64 s[14:15], 0
	v_mov_b32_e32 v5, s11
	v_mov_b32_e32 v6, s13
	v_mov_b32_e32 v7, v0
.LBB16_4:                               ; =>This Inner Loop Header: Depth=1
	global_load_dwordx2 v[8:9], v[3:4], off
	global_load_dwordx2 v[10:11], v[1:2], off
	v_add_u32_e32 v7, s4, v7
	v_cmp_le_i32_e32 vcc, s16, v7
	s_or_b64 s[14:15], vcc, s[14:15]
	s_waitcnt vmcnt(1)
	global_store_dwordx2 v[1:2], v[8:9], off
	s_waitcnt vmcnt(1)
	global_store_dwordx2 v[3:4], v[10:11], off
	v_add_co_u32_e32 v1, vcc, s10, v1
	v_addc_co_u32_e32 v2, vcc, v2, v5, vcc
	v_add_co_u32_e32 v3, vcc, s12, v3
	v_addc_co_u32_e32 v4, vcc, v4, v6, vcc
	s_andn2_b64 exec, exec, s[14:15]
	s_cbranch_execnz .LBB16_4
.LBB16_5:
	s_or_b64 exec, exec, s[6:7]
	s_mov_b64 s[6:7], 0
.LBB16_6:
	s_andn2_b64 vcc, exec, s[6:7]
	s_cbranch_vccnz .LBB16_10
; %bb.7:
	s_and_saveexec_b64 s[6:7], s[0:1]
	s_cbranch_execz .LBB16_10
; %bb.8:
	v_ashrrev_i32_e32 v1, 31, v0
	s_ashr_i32 s5, s4, 31
	v_lshlrev_b64 v[1:2], 3, v[0:1]
	s_lshl_b64 s[0:1], s[4:5], 3
	s_mov_b64 s[6:7], 0
	v_mov_b32_e32 v3, s9
	v_mov_b32_e32 v4, s3
	v_mov_b32_e32 v5, s1
.LBB16_9:                               ; =>This Inner Loop Header: Depth=1
	v_add_co_u32_e32 v6, vcc, s8, v1
	v_addc_co_u32_e32 v7, vcc, v3, v2, vcc
	v_add_co_u32_e32 v8, vcc, s2, v1
	v_addc_co_u32_e32 v9, vcc, v4, v2, vcc
	global_load_dwordx2 v[10:11], v[8:9], off
	global_load_dwordx2 v[12:13], v[6:7], off
	v_add_co_u32_e32 v1, vcc, s0, v1
	v_add_u32_e32 v0, s4, v0
	v_addc_co_u32_e32 v2, vcc, v2, v5, vcc
	v_cmp_le_i32_e32 vcc, s16, v0
	s_or_b64 s[6:7], vcc, s[6:7]
	s_waitcnt vmcnt(1)
	global_store_dwordx2 v[6:7], v[10:11], off
	s_waitcnt vmcnt(1)
	global_store_dwordx2 v[8:9], v[12:13], off
	s_andn2_b64 exec, exec, s[6:7]
	s_cbranch_execnz .LBB16_9
.LBB16_10:
	s_endpgm
	.section	.rodata,"a",@progbits
	.p2align	6, 0x0
	.amdhsa_kernel _ZN9rocsolver6v33100L11swap_kernelI19rocblas_complex_numIfEiEEvT0_PT_S4_S6_S4_
		.amdhsa_group_segment_fixed_size 0
		.amdhsa_private_segment_fixed_size 0
		.amdhsa_kernarg_size 296
		.amdhsa_user_sgpr_count 6
		.amdhsa_user_sgpr_private_segment_buffer 1
		.amdhsa_user_sgpr_dispatch_ptr 0
		.amdhsa_user_sgpr_queue_ptr 0
		.amdhsa_user_sgpr_kernarg_segment_ptr 1
		.amdhsa_user_sgpr_dispatch_id 0
		.amdhsa_user_sgpr_flat_scratch_init 0
		.amdhsa_user_sgpr_private_segment_size 0
		.amdhsa_uses_dynamic_stack 0
		.amdhsa_system_sgpr_private_segment_wavefront_offset 0
		.amdhsa_system_sgpr_workgroup_id_x 1
		.amdhsa_system_sgpr_workgroup_id_y 0
		.amdhsa_system_sgpr_workgroup_id_z 0
		.amdhsa_system_sgpr_workgroup_info 0
		.amdhsa_system_vgpr_workitem_id 0
		.amdhsa_next_free_vgpr 14
		.amdhsa_next_free_sgpr 17
		.amdhsa_reserve_vcc 1
		.amdhsa_reserve_flat_scratch 0
		.amdhsa_float_round_mode_32 0
		.amdhsa_float_round_mode_16_64 0
		.amdhsa_float_denorm_mode_32 3
		.amdhsa_float_denorm_mode_16_64 3
		.amdhsa_dx10_clamp 1
		.amdhsa_ieee_mode 1
		.amdhsa_fp16_overflow 0
		.amdhsa_exception_fp_ieee_invalid_op 0
		.amdhsa_exception_fp_denorm_src 0
		.amdhsa_exception_fp_ieee_div_zero 0
		.amdhsa_exception_fp_ieee_overflow 0
		.amdhsa_exception_fp_ieee_underflow 0
		.amdhsa_exception_fp_ieee_inexact 0
		.amdhsa_exception_int_div_zero 0
	.end_amdhsa_kernel
	.section	.text._ZN9rocsolver6v33100L11swap_kernelI19rocblas_complex_numIfEiEEvT0_PT_S4_S6_S4_,"axG",@progbits,_ZN9rocsolver6v33100L11swap_kernelI19rocblas_complex_numIfEiEEvT0_PT_S4_S6_S4_,comdat
.Lfunc_end16:
	.size	_ZN9rocsolver6v33100L11swap_kernelI19rocblas_complex_numIfEiEEvT0_PT_S4_S6_S4_, .Lfunc_end16-_ZN9rocsolver6v33100L11swap_kernelI19rocblas_complex_numIfEiEEvT0_PT_S4_S6_S4_
                                        ; -- End function
	.set _ZN9rocsolver6v33100L11swap_kernelI19rocblas_complex_numIfEiEEvT0_PT_S4_S6_S4_.num_vgpr, 14
	.set _ZN9rocsolver6v33100L11swap_kernelI19rocblas_complex_numIfEiEEvT0_PT_S4_S6_S4_.num_agpr, 0
	.set _ZN9rocsolver6v33100L11swap_kernelI19rocblas_complex_numIfEiEEvT0_PT_S4_S6_S4_.numbered_sgpr, 17
	.set _ZN9rocsolver6v33100L11swap_kernelI19rocblas_complex_numIfEiEEvT0_PT_S4_S6_S4_.num_named_barrier, 0
	.set _ZN9rocsolver6v33100L11swap_kernelI19rocblas_complex_numIfEiEEvT0_PT_S4_S6_S4_.private_seg_size, 0
	.set _ZN9rocsolver6v33100L11swap_kernelI19rocblas_complex_numIfEiEEvT0_PT_S4_S6_S4_.uses_vcc, 1
	.set _ZN9rocsolver6v33100L11swap_kernelI19rocblas_complex_numIfEiEEvT0_PT_S4_S6_S4_.uses_flat_scratch, 0
	.set _ZN9rocsolver6v33100L11swap_kernelI19rocblas_complex_numIfEiEEvT0_PT_S4_S6_S4_.has_dyn_sized_stack, 0
	.set _ZN9rocsolver6v33100L11swap_kernelI19rocblas_complex_numIfEiEEvT0_PT_S4_S6_S4_.has_recursion, 0
	.set _ZN9rocsolver6v33100L11swap_kernelI19rocblas_complex_numIfEiEEvT0_PT_S4_S6_S4_.has_indirect_call, 0
	.section	.AMDGPU.csdata,"",@progbits
; Kernel info:
; codeLenInByte = 460
; TotalNumSgprs: 21
; NumVgprs: 14
; ScratchSize: 0
; MemoryBound: 0
; FloatMode: 240
; IeeeMode: 1
; LDSByteSize: 0 bytes/workgroup (compile time only)
; SGPRBlocks: 2
; VGPRBlocks: 3
; NumSGPRsForWavesPerEU: 21
; NumVGPRsForWavesPerEU: 14
; Occupancy: 10
; WaveLimiterHint : 0
; COMPUTE_PGM_RSRC2:SCRATCH_EN: 0
; COMPUTE_PGM_RSRC2:USER_SGPR: 6
; COMPUTE_PGM_RSRC2:TRAP_HANDLER: 0
; COMPUTE_PGM_RSRC2:TGID_X_EN: 1
; COMPUTE_PGM_RSRC2:TGID_Y_EN: 0
; COMPUTE_PGM_RSRC2:TGID_Z_EN: 0
; COMPUTE_PGM_RSRC2:TIDIG_COMP_CNT: 0
	.section	.text._ZN9rocsolver6v33100L12steqr_kernelI19rocblas_complex_numIfEfPS3_EEviPT0_lS6_lT1_iilPiS6_iS5_S5_S5_,"axG",@progbits,_ZN9rocsolver6v33100L12steqr_kernelI19rocblas_complex_numIfEfPS3_EEviPT0_lS6_lT1_iilPiS6_iS5_S5_S5_,comdat
	.globl	_ZN9rocsolver6v33100L12steqr_kernelI19rocblas_complex_numIfEfPS3_EEviPT0_lS6_lT1_iilPiS6_iS5_S5_S5_ ; -- Begin function _ZN9rocsolver6v33100L12steqr_kernelI19rocblas_complex_numIfEfPS3_EEviPT0_lS6_lT1_iilPiS6_iS5_S5_S5_
	.p2align	8
	.type	_ZN9rocsolver6v33100L12steqr_kernelI19rocblas_complex_numIfEfPS3_EEviPT0_lS6_lT1_iilPiS6_iS5_S5_S5_,@function
_ZN9rocsolver6v33100L12steqr_kernelI19rocblas_complex_numIfEfPS3_EEviPT0_lS6_lT1_iilPiS6_iS5_S5_S5_: ; @_ZN9rocsolver6v33100L12steqr_kernelI19rocblas_complex_numIfEfPS3_EEviPT0_lS6_lT1_iilPiS6_iS5_S5_S5_
; %bb.0:
	s_load_dword s0, s[4:5], 0x6c
	s_load_dword s8, s[4:5], 0x60
	s_mov_b32 s38, s7
	s_waitcnt lgkmcnt(0)
	s_and_b32 s9, s0, 0xffff
	s_mul_i32 s6, s6, s9
	v_add_u32_e32 v0, s6, v0
	v_cmp_eq_u32_e64 s[0:1], 0, v0
	s_and_saveexec_b64 s[2:3], s[0:1]
; %bb.1:
	v_mov_b32_e32 v1, 0
	ds_write2_b32 v1, v1, v1 offset0:3 offset1:7
; %bb.2:
	s_or_b64 exec, exec, s[2:3]
	s_load_dword s10, s[4:5], 0x0
	s_load_dwordx8 s[20:27], s[4:5], 0x8
	s_load_dwordx8 s[12:19], s[4:5], 0x28
	s_load_dwordx2 s[6:7], s[4:5], 0x48
	s_load_dwordx4 s[28:31], s[4:5], 0x50
	s_ashr_i32 s39, s38, 31
	s_waitcnt lgkmcnt(0)
	s_mul_hi_u32 s2, s22, s38
	s_mul_i32 s3, s22, s39
	s_add_i32 s2, s2, s3
	s_mul_i32 s3, s23, s38
	s_add_i32 s3, s2, s3
	s_mul_i32 s2, s22, s38
	v_mov_b32_e32 v36, 0
	s_lshl_b64 s[36:37], s[2:3], 2
	s_barrier
	ds_read2_b32 v[1:2], v36 offset0:3 offset1:7
	s_add_u32 s22, s20, s36
	s_mul_hi_u32 s2, s26, s38
	s_mul_i32 s3, s26, s39
	s_addc_u32 s23, s21, s37
	s_add_i32 s2, s2, s3
	s_mul_i32 s3, s27, s38
	s_add_i32 s43, s2, s3
	s_mul_hi_u32 s2, s16, s38
	s_mul_i32 s3, s16, s39
	s_add_i32 s2, s2, s3
	s_mul_i32 s3, s17, s38
	s_add_i32 s17, s2, s3
	s_waitcnt lgkmcnt(0)
	v_cmp_gt_i32_e32 vcc, s10, v1
	v_cmp_gt_i32_e64 s[2:3], s28, v2
	s_and_b64 s[2:3], vcc, s[2:3]
	s_mul_i32 s34, s8, s9
	s_mul_i32 s42, s26, s38
	s_ashr_i32 s27, s14, 31
	s_mov_b32 s26, s14
	s_mul_i32 s16, s16, s38
	v_readfirstlane_b32 s8, v1
	s_andn2_b64 vcc, exec, s[2:3]
	s_add_i32 s40, s10, -1
	s_cbranch_vccnz .LBB17_223
; %bb.3:
	s_lshl_b32 s9, s10, 1
	s_lshl_b64 s[2:3], s[42:43], 2
	s_add_u32 s14, s24, s2
	s_addc_u32 s33, s25, s3
	s_lshl_b64 s[2:3], s[16:17], 3
	s_add_u32 s11, s12, s2
	s_addc_u32 s35, s13, s3
	s_lshl_b64 s[4:5], s[26:27], 3
	s_add_u32 s88, s11, s4
	s_mul_hi_i32 s45, s9, s38
	s_mul_i32 s44, s9, s38
	s_addc_u32 s89, s35, s5
	s_lshl_b64 s[50:51], s[44:45], 2
	s_add_u32 s90, s6, s50
	s_addc_u32 s91, s7, s51
	s_ashr_i32 s11, s10, 31
	s_ashr_i32 s45, s15, 31
	s_add_u32 s92, s20, s36
	s_addc_u32 s93, s21, s37
	s_add_u32 s94, s92, 4
	s_addc_u32 s95, s93, 0
	s_ashr_i32 s35, s34, 31
	s_lshl_b64 s[46:47], s[34:35], 2
	s_lshl_b64 s[48:49], s[10:11], 2
	s_add_u32 s9, s50, s48
	s_addc_u32 s11, s51, s49
	s_add_u32 s6, s6, s9
	s_addc_u32 s7, s7, s11
	s_add_u32 s6, s6, -8
	s_addc_u32 s7, s7, -1
                                        ; implicit-def: $vgpr60 : SGPR spill to VGPR lane
	v_ashrrev_i32_e32 v1, 31, v0
	v_writelane_b32 v60, s6, 0
	v_writelane_b32 v60, s7, 1
	s_add_u32 s6, s90, -4
	s_addc_u32 s7, s91, -1
	s_add_u32 s54, s14, -4
	s_addc_u32 s55, s33, -1
	;; [unrolled: 2-line block ×3, first 2 shown]
	s_add_u32 s2, s2, s4
	s_addc_u32 s3, s3, s5
	s_mov_b32 s44, s15
	v_lshlrev_b64 v[1:2], 3, v[0:1]
	s_add_u32 s2, s12, s2
	s_addc_u32 s3, s13, s3
	s_lshl_b64 s[56:57], s[44:45], 3
	s_lshl_b64 s[60:61], s[34:35], 3
	v_mov_b32_e32 v3, s3
	v_add_co_u32_e32 v1, vcc, s2, v1
	s_sub_u32 s35, 0, s56
	v_addc_co_u32_e32 v2, vcc, v3, v2, vcc
	s_subb_u32 s59, 0, s57
	v_add_co_u32_e32 v38, vcc, 4, v1
	s_mov_b32 s80, 0x667f3bcd
	s_add_u32 s50, s92, -4
	v_writelane_b32 v60, s6, 2
	v_mul_f32_e64 v37, s29, s29
	v_addc_co_u32_e32 v39, vcc, 0, v2, vcc
	v_mov_b32_e32 v40, 0x260
	s_mov_b32 s81, 0x3ff6a09e
	s_addc_u32 s51, s93, -1
	s_mov_b32 s52, 0xf800000
	s_mov_b32 s53, 0x4f800000
	v_cmp_gt_i32_e64 s[2:3], s10, v0
	s_mov_b32 s63, 0
	v_writelane_b32 v60, s7, 3
                                        ; implicit-def: $vgpr43
                                        ; implicit-def: $vgpr9_vgpr10
                                        ; implicit-def: $vgpr11_vgpr12
                                        ; implicit-def: $vgpr13_vgpr14
                                        ; implicit-def: $vgpr1_vgpr2
                                        ; implicit-def: $vgpr42
                                        ; implicit-def: $vgpr7_vgpr8
                                        ; implicit-def: $vgpr3_vgpr4
                                        ; implicit-def: $vgpr5_vgpr6
                                        ; implicit-def: $vgpr41
	s_branch .LBB17_7
.LBB17_4:                               ;   in Loop: Header=BB17_7 Depth=1
	s_or_b64 exec, exec, s[4:5]
.LBB17_5:                               ;   in Loop: Header=BB17_7 Depth=1
	s_waitcnt vmcnt(0)
	s_barrier
.LBB17_6:                               ;   in Loop: Header=BB17_7 Depth=1
	ds_read2_b32 v[15:16], v36 offset0:3 offset1:7
	s_waitcnt lgkmcnt(0)
	v_cmp_gt_i32_e32 vcc, s10, v15
	v_cmp_gt_i32_e64 s[4:5], s28, v16
	s_and_b64 s[4:5], vcc, s[4:5]
	s_andn2_b64 vcc, exec, s[4:5]
	v_readfirstlane_b32 s8, v15
	s_cbranch_vccnz .LBB17_223
.LBB17_7:                               ; =>This Loop Header: Depth=1
                                        ;     Child Loop BB17_15 Depth 2
                                        ;     Child Loop BB17_28 Depth 2
	;; [unrolled: 1-line block ×5, first 2 shown]
                                        ;       Child Loop BB17_61 Depth 3
                                        ;       Child Loop BB17_81 Depth 3
	;; [unrolled: 1-line block ×3, first 2 shown]
                                        ;         Child Loop BB17_129 Depth 4
                                        ;     Child Loop BB17_133 Depth 2
                                        ;       Child Loop BB17_139 Depth 3
                                        ;       Child Loop BB17_159 Depth 3
	;; [unrolled: 1-line block ×3, first 2 shown]
                                        ;         Child Loop BB17_207 Depth 4
                                        ;     Child Loop BB17_215 Depth 2
                                        ;     Child Loop BB17_222 Depth 2
	s_and_saveexec_b64 s[64:65], s[0:1]
	s_cbranch_execz .LBB17_31
; %bb.8:                                ;   in Loop: Header=BB17_7 Depth=1
	s_cmp_lt_i32 s8, 1
	s_cbranch_scc1 .LBB17_10
; %bb.9:                                ;   in Loop: Header=BB17_7 Depth=1
	s_mov_b32 s9, s63
	s_lshl_b64 s[4:5], s[8:9], 2
	s_add_u32 s4, s14, s4
	s_addc_u32 s5, s33, s5
	global_store_dword v36, v36, s[4:5] offset:-4
.LBB17_10:                              ;   in Loop: Header=BB17_7 Depth=1
	s_mov_b64 s[6:7], -1
	s_mov_b64 s[4:5], 0
	s_cmp_lt_i32 s8, s40
	s_mov_b64 s[66:67], 0
	s_cbranch_scc1 .LBB17_12
; %bb.11:                               ;   in Loop: Header=BB17_7 Depth=1
	s_ashr_i32 s9, s8, 31
	s_mov_b64 s[6:7], 0
	s_mov_b64 s[66:67], -1
.LBB17_12:                              ;   in Loop: Header=BB17_7 Depth=1
	s_andn2_b64 vcc, exec, s[6:7]
	s_cbranch_vccnz .LBB17_17
; %bb.13:                               ;   in Loop: Header=BB17_7 Depth=1
	s_ashr_i32 s9, s8, 31
	s_lshl_b64 s[4:5], s[8:9], 2
	s_add_u32 s74, s14, s4
	s_addc_u32 s75, s33, s5
	s_add_u32 s72, s94, s4
	s_addc_u32 s73, s95, s5
	s_mov_b64 s[76:77], s[8:9]
	s_branch .LBB17_15
.LBB17_14:                              ;   in Loop: Header=BB17_15 Depth=2
	s_andn2_b64 vcc, exec, s[4:5]
	s_cbranch_vccz .LBB17_18
.LBB17_15:                              ;   Parent Loop BB17_7 Depth=1
                                        ; =>  This Inner Loop Header: Depth=2
	global_load_dwordx2 v[9:10], v36, s[72:73] offset:-4
	global_load_dword v11, v36, s[74:75]
	s_mov_b64 s[68:69], s[74:75]
	s_mov_b64 s[70:71], s[76:77]
	s_mov_b64 s[78:79], -1
                                        ; implicit-def: $sgpr76_sgpr77
                                        ; implicit-def: $sgpr74_sgpr75
	s_waitcnt vmcnt(1)
	v_mul_f32_e64 v12, |v9|, s53
	v_cmp_lt_f32_e64 vcc, |v9|, s52
	v_mul_f32_e64 v13, |v10|, s53
	v_cndmask_b32_e64 v9, |v9|, v12, vcc
	v_cmp_lt_f32_e64 s[4:5], |v10|, s52
	v_sqrt_f32_e32 v12, v9
	v_cndmask_b32_e64 v10, |v10|, v13, s[4:5]
	v_sqrt_f32_e32 v13, v10
	v_add_u32_e32 v14, -1, v12
	v_fma_f32 v18, -v14, v12, v9
	v_add_u32_e32 v16, -1, v13
	v_add_u32_e32 v15, 1, v12
	v_fma_f32 v20, -v16, v13, v10
	v_cmp_ge_f32_e64 s[6:7], 0, v18
	v_add_u32_e32 v17, 1, v13
	v_fma_f32 v19, -v15, v12, v9
	v_cndmask_b32_e64 v12, v12, v14, s[6:7]
	v_cmp_ge_f32_e64 s[6:7], 0, v20
	v_fma_f32 v21, -v17, v13, v10
	v_cndmask_b32_e64 v13, v13, v16, s[6:7]
	v_cmp_lt_f32_e64 s[6:7], 0, v19
	v_cndmask_b32_e64 v12, v12, v15, s[6:7]
	v_cmp_lt_f32_e64 s[6:7], 0, v21
	v_cndmask_b32_e64 v13, v13, v17, s[6:7]
	v_mul_f32_e32 v14, 0x37800000, v12
	v_mul_f32_e32 v15, 0x37800000, v13
	v_cndmask_b32_e32 v12, v12, v14, vcc
	v_cmp_class_f32_e32 vcc, v9, v40
	v_cndmask_b32_e64 v13, v13, v15, s[4:5]
	v_cndmask_b32_e32 v9, v12, v9, vcc
	v_cmp_class_f32_e32 vcc, v10, v40
	v_cndmask_b32_e32 v10, v13, v10, vcc
	v_mul_f32_e32 v9, v9, v10
	v_mul_f32_e32 v9, s29, v9
	s_waitcnt vmcnt(0)
	v_cmp_nle_f32_e64 s[4:5], |v11|, v9
	s_and_b64 vcc, exec, s[4:5]
	s_mov_b64 s[4:5], -1
	s_cbranch_vccz .LBB17_14
; %bb.16:                               ;   in Loop: Header=BB17_15 Depth=2
	s_add_u32 s76, s70, 1
	s_addc_u32 s77, s71, 0
	s_add_u32 s74, s68, 4
	s_addc_u32 s75, s69, 0
	;; [unrolled: 2-line block ×3, first 2 shown]
	s_cmp_ge_i32 s76, s40
	s_mov_b64 s[78:79], 0
	s_cselect_b64 s[4:5], -1, 0
	s_branch .LBB17_14
.LBB17_17:                              ;   in Loop: Header=BB17_7 Depth=1
	s_mov_b32 s41, s8
	s_mov_b64 s[6:7], s[8:9]
	s_and_b64 vcc, exec, s[66:67]
	s_cbranch_vccnz .LBB17_21
	s_branch .LBB17_22
.LBB17_18:                              ;   in Loop: Header=BB17_7 Depth=1
	s_xor_b64 s[6:7], s[78:79], -1
	s_mov_b64 s[4:5], -1
	s_and_b64 vcc, exec, s[6:7]
                                        ; implicit-def: $sgpr6_sgpr7
	s_cbranch_vccz .LBB17_20
; %bb.19:                               ;   in Loop: Header=BB17_7 Depth=1
	s_ashr_i32 s41, s40, 31
	s_mov_b64 s[66:67], -1
	s_mov_b64 s[4:5], 0
	s_mov_b64 s[6:7], s[40:41]
.LBB17_20:                              ;   in Loop: Header=BB17_7 Depth=1
	v_mov_b32_e32 v9, s70
	v_mov_b32_e32 v11, s68
	;; [unrolled: 1-line block ×7, first 2 shown]
	s_mov_b32 s41, s40
	s_and_b64 vcc, exec, s[66:67]
	s_cbranch_vccz .LBB17_22
.LBB17_21:                              ;   in Loop: Header=BB17_7 Depth=1
	v_mov_b32_e32 v15, s41
	ds_write_b32 v36, v15 offset:4
.LBB17_22:                              ;   in Loop: Header=BB17_7 Depth=1
	v_mov_b32_e32 v16, s9
	v_mov_b32_e32 v18, s7
	s_andn2_b64 vcc, exec, s[4:5]
	v_mov_b32_e32 v15, s8
	v_mov_b32_e32 v17, s6
	;; [unrolled: 1-line block ×3, first 2 shown]
	s_cbranch_vccnz .LBB17_24
; %bb.23:                               ;   in Loop: Header=BB17_7 Depth=1
	v_mov_b32_e32 v16, v14
	v_mov_b32_e32 v18, v10
	;; [unrolled: 1-line block ×5, first 2 shown]
	ds_write_b32 v36, v43 offset:4
	global_store_dword v[11:12], v36, off
.LBB17_24:                              ;   in Loop: Header=BB17_7 Depth=1
	v_lshlrev_b64 v[17:18], 2, v[17:18]
	v_mov_b32_e32 v21, s23
	v_add_co_u32_e32 v20, vcc, s22, v17
	v_addc_co_u32_e32 v21, vcc, v21, v18, vcc
	v_lshlrev_b64 v[17:18], 2, v[15:16]
	v_mov_b32_e32 v15, s23
	v_add_co_u32_e32 v22, vcc, s22, v17
	v_addc_co_u32_e32 v23, vcc, v15, v18, vcc
	global_load_dword v15, v[20:21], off
	global_load_dword v16, v[22:23], off
	v_mov_b32_e32 v20, s8
	ds_write2_b32 v36, v20, v19 offset1:5
	ds_write_b32 v36, v19 offset:32
	v_add_u32_e32 v20, 1, v19
	v_mov_b32_e32 v21, s8
	ds_write2_b32 v36, v20, v21 offset0:3 offset1:4
	s_waitcnt vmcnt(0)
	v_cmp_lt_f32_e64 s[6:7], |v15|, |v16|
	s_and_saveexec_b64 s[4:5], s[6:7]
; %bb.25:                               ;   in Loop: Header=BB17_7 Depth=1
	v_mov_b32_e32 v16, s8
	ds_write2_b32 v36, v19, v16 offset1:5
; %bb.26:                               ;   in Loop: Header=BB17_7 Depth=1
	s_or_b64 exec, exec, s[4:5]
	v_and_b32_e32 v20, 0x7fffffff, v15
	v_cmp_lt_i32_e32 vcc, s8, v19
	s_and_saveexec_b64 s[4:5], vcc
	s_cbranch_execz .LBB17_30
; %bb.27:                               ;   in Loop: Header=BB17_7 Depth=1
	v_mov_b32_e32 v16, s93
	v_add_co_u32_e32 v15, vcc, s92, v17
	v_addc_co_u32_e32 v16, vcc, v16, v18, vcc
	v_mov_b32_e32 v21, s33
	v_add_co_u32_e32 v17, vcc, s14, v17
	v_addc_co_u32_e32 v18, vcc, v21, v18, vcc
	s_mov_b64 s[6:7], 0
.LBB17_28:                              ;   Parent Loop BB17_7 Depth=1
                                        ; =>  This Inner Loop Header: Depth=2
	global_load_dword v21, v[15:16], off
	global_load_dword v22, v[17:18], off
	v_add_co_u32_e32 v15, vcc, 4, v15
	v_addc_co_u32_e32 v16, vcc, 0, v16, vcc
	v_add_co_u32_e32 v17, vcc, 4, v17
	s_add_i32 s8, s8, 1
	v_addc_co_u32_e32 v18, vcc, 0, v18, vcc
	v_cmp_ge_i32_e32 vcc, s8, v19
	s_or_b64 s[6:7], vcc, s[6:7]
	s_waitcnt vmcnt(0)
	v_max3_f32 v20, v20, |v21|, |v22|
	s_andn2_b64 exec, exec, s[6:7]
	s_cbranch_execnz .LBB17_28
; %bb.29:                               ;   in Loop: Header=BB17_7 Depth=1
	s_or_b64 exec, exec, s[6:7]
.LBB17_30:                              ;   in Loop: Header=BB17_7 Depth=1
	s_or_b64 exec, exec, s[4:5]
	ds_write_b32 v36, v20 offset:24
.LBB17_31:                              ;   in Loop: Header=BB17_7 Depth=1
	s_or_b64 exec, exec, s[64:65]
	s_waitcnt lgkmcnt(0)
	s_barrier
	ds_read2_b32 v[15:16], v36 offset0:5 offset1:6
	ds_read_b32 v17, v36
	s_waitcnt lgkmcnt(1)
	v_cmp_eq_f32_e64 s[4:5], 0, v16
	s_waitcnt lgkmcnt(0)
	v_cmp_eq_u32_e32 vcc, v15, v17
	s_or_b64 s[4:5], vcc, s[4:5]
	s_and_b64 vcc, exec, s[4:5]
	s_cbranch_vccnz .LBB17_6
; %bb.32:                               ;   in Loop: Header=BB17_7 Depth=1
	v_cmp_nlt_f32_e32 vcc, s31, v16
	s_mov_b64 s[4:5], -1
	s_cbranch_vccz .LBB17_41
; %bb.33:                               ;   in Loop: Header=BB17_7 Depth=1
	v_cmp_ngt_f32_e32 vcc, s30, v16
	s_cbranch_vccnz .LBB17_40
; %bb.34:                               ;   in Loop: Header=BB17_7 Depth=1
	v_div_scale_f32 v15, s[4:5], s30, s30, v16
	v_div_scale_f32 v17, vcc, v16, s30, v16
	v_rcp_f32_e32 v18, v15
	v_fma_f32 v19, -v15, v18, 1.0
	v_fmac_f32_e32 v18, v19, v18
	v_mul_f32_e32 v19, v17, v18
	v_fma_f32 v20, -v15, v19, v17
	v_fmac_f32_e32 v19, v20, v18
	v_fma_f32 v15, -v15, v19, v17
	v_div_fmas_f32 v15, v15, v18, v19
	ds_read2_b32 v[17:18], v36 offset0:4 offset1:8
	v_div_fixup_f32 v15, v15, s30, v16
	s_and_saveexec_b64 s[4:5], s[0:1]
	s_cbranch_execz .LBB17_36
; %bb.35:                               ;   in Loop: Header=BB17_7 Depth=1
	s_waitcnt lgkmcnt(0)
	v_ashrrev_i32_e32 v20, 31, v18
	v_mov_b32_e32 v19, v18
	v_lshlrev_b64 v[19:20], 2, v[19:20]
	v_mov_b32_e32 v21, s23
	v_add_co_u32_e32 v19, vcc, s22, v19
	v_addc_co_u32_e32 v20, vcc, v21, v20, vcc
	global_load_dword v21, v[19:20], off
	s_waitcnt vmcnt(0)
	v_mul_f32_e32 v21, v15, v21
	global_store_dword v[19:20], v21, off
.LBB17_36:                              ;   in Loop: Header=BB17_7 Depth=1
	s_or_b64 exec, exec, s[4:5]
	s_waitcnt lgkmcnt(0)
	v_add_u32_e32 v19, v17, v0
	v_cmp_lt_i32_e32 vcc, v19, v18
	s_and_saveexec_b64 s[4:5], vcc
	s_cbranch_execz .LBB17_39
; %bb.37:                               ;   in Loop: Header=BB17_7 Depth=1
	v_ashrrev_i32_e32 v20, 31, v19
	v_lshlrev_b64 v[20:21], 2, v[19:20]
	s_mov_b64 s[6:7], 0
.LBB17_38:                              ;   Parent Loop BB17_7 Depth=1
                                        ; =>  This Inner Loop Header: Depth=2
	v_mov_b32_e32 v17, s23
	v_add_co_u32_e32 v22, vcc, s22, v20
	v_addc_co_u32_e32 v23, vcc, v17, v21, vcc
	global_load_dword v17, v[22:23], off
	v_mov_b32_e32 v25, s33
	v_add_co_u32_e32 v24, vcc, s14, v20
	v_addc_co_u32_e32 v25, vcc, v25, v21, vcc
	v_add_co_u32_e32 v20, vcc, s46, v20
	v_add_u32_e32 v19, s34, v19
	s_waitcnt vmcnt(0)
	v_mul_f32_e32 v17, v15, v17
	global_store_dword v[22:23], v17, off
	global_load_dword v17, v[24:25], off
	v_mov_b32_e32 v22, s47
	v_addc_co_u32_e32 v21, vcc, v21, v22, vcc
	v_cmp_ge_i32_e32 vcc, v19, v18
	s_or_b64 s[6:7], vcc, s[6:7]
	s_waitcnt vmcnt(0)
	v_mul_f32_e32 v17, v15, v17
	global_store_dword v[24:25], v17, off
	s_andn2_b64 exec, exec, s[6:7]
	s_cbranch_execnz .LBB17_38
.LBB17_39:                              ;   in Loop: Header=BB17_7 Depth=1
	s_or_b64 exec, exec, s[4:5]
.LBB17_40:                              ;   in Loop: Header=BB17_7 Depth=1
	s_mov_b64 s[4:5], 0
.LBB17_41:                              ;   in Loop: Header=BB17_7 Depth=1
	s_andn2_b64 vcc, exec, s[4:5]
	s_cbranch_vccnz .LBB17_48
; %bb.42:                               ;   in Loop: Header=BB17_7 Depth=1
	v_div_scale_f32 v15, s[4:5], s31, s31, v16
	v_div_scale_f32 v17, vcc, v16, s31, v16
	v_rcp_f32_e32 v18, v15
	v_fma_f32 v19, -v15, v18, 1.0
	v_fmac_f32_e32 v18, v19, v18
	v_mul_f32_e32 v19, v17, v18
	v_fma_f32 v20, -v15, v19, v17
	v_fmac_f32_e32 v19, v20, v18
	v_fma_f32 v15, -v15, v19, v17
	v_div_fmas_f32 v15, v15, v18, v19
	ds_read2_b32 v[17:18], v36 offset0:4 offset1:8
	v_div_fixup_f32 v19, v15, s31, v16
	s_and_saveexec_b64 s[4:5], s[0:1]
	s_cbranch_execz .LBB17_44
; %bb.43:                               ;   in Loop: Header=BB17_7 Depth=1
	s_waitcnt lgkmcnt(0)
	v_ashrrev_i32_e32 v16, 31, v18
	v_mov_b32_e32 v15, v18
	v_lshlrev_b64 v[15:16], 2, v[15:16]
	v_mov_b32_e32 v20, s23
	v_add_co_u32_e32 v15, vcc, s22, v15
	v_addc_co_u32_e32 v16, vcc, v20, v16, vcc
	global_load_dword v20, v[15:16], off
	s_waitcnt vmcnt(0)
	v_mul_f32_e32 v20, v19, v20
	global_store_dword v[15:16], v20, off
.LBB17_44:                              ;   in Loop: Header=BB17_7 Depth=1
	s_or_b64 exec, exec, s[4:5]
	s_waitcnt lgkmcnt(0)
	v_add_u32_e32 v15, v17, v0
	v_cmp_lt_i32_e32 vcc, v15, v18
	s_and_saveexec_b64 s[4:5], vcc
	s_cbranch_execz .LBB17_47
; %bb.45:                               ;   in Loop: Header=BB17_7 Depth=1
	v_ashrrev_i32_e32 v16, 31, v15
	v_lshlrev_b64 v[16:17], 2, v[15:16]
	s_mov_b64 s[6:7], 0
.LBB17_46:                              ;   Parent Loop BB17_7 Depth=1
                                        ; =>  This Inner Loop Header: Depth=2
	v_add_co_u32_e32 v20, vcc, s22, v16
	v_mov_b32_e32 v21, s23
	v_addc_co_u32_e32 v21, vcc, v21, v17, vcc
	global_load_dword v22, v[20:21], off
	v_add_u32_e32 v15, s34, v15
	s_waitcnt vmcnt(0)
	v_mul_f32_e32 v22, v19, v22
	global_store_dword v[20:21], v22, off
	v_add_co_u32_e32 v20, vcc, s14, v16
	v_mov_b32_e32 v21, s33
	v_addc_co_u32_e32 v21, vcc, v21, v17, vcc
	global_load_dword v22, v[20:21], off
	v_add_co_u32_e32 v16, vcc, s46, v16
	s_waitcnt vmcnt(0)
	v_mul_f32_e32 v22, v19, v22
	global_store_dword v[20:21], v22, off
	v_mov_b32_e32 v20, s47
	v_addc_co_u32_e32 v17, vcc, v17, v20, vcc
	v_cmp_ge_i32_e32 vcc, v15, v18
	s_or_b64 s[6:7], vcc, s[6:7]
	s_andn2_b64 exec, exec, s[6:7]
	s_cbranch_execnz .LBB17_46
.LBB17_47:                              ;   in Loop: Header=BB17_7 Depth=1
	s_or_b64 exec, exec, s[4:5]
.LBB17_48:                              ;   in Loop: Header=BB17_7 Depth=1
	s_waitcnt vmcnt(0)
	s_barrier
	ds_read2_b32 v[15:16], v36 offset1:5
	ds_read_b32 v18, v36 offset:28
	s_mov_b64 s[6:7], -1
                                        ; implicit-def: $vgpr21_vgpr22
                                        ; implicit-def: $vgpr19_vgpr20
	s_waitcnt lgkmcnt(1)
	v_mov_b32_e32 v17, v16
	s_waitcnt lgkmcnt(0)
	v_cmp_gt_i32_e64 s[4:5], s28, v18
	v_cmp_lt_i32_e32 vcc, v16, v15
	v_cndmask_b32_e64 v16, 0, 1, s[4:5]
	v_cmp_ne_u32_e64 s[4:5], 1, v16
                                        ; implicit-def: $vgpr16
	s_cbranch_vccnz .LBB17_51
; %bb.49:                               ;   in Loop: Header=BB17_7 Depth=1
	v_mov_b32_e32 v22, v6
	v_mov_b32_e32 v20, v4
	s_and_b64 vcc, exec, s[4:5]
	v_mov_b32_e32 v21, v5
	v_mov_b32_e32 v19, v3
	;; [unrolled: 1-line block ×6, first 2 shown]
	s_cbranch_vccz .LBB17_55
.LBB17_50:                              ;   in Loop: Header=BB17_7 Depth=1
	s_mov_b64 s[6:7], 0
.LBB17_51:                              ;   in Loop: Header=BB17_7 Depth=1
	s_andn2_b64 vcc, exec, s[6:7]
	s_cbranch_vccnz .LBB17_209
; %bb.52:                               ;   in Loop: Header=BB17_7 Depth=1
	s_and_b64 vcc, exec, s[4:5]
	s_cbranch_vccz .LBB17_133
	s_branch .LBB17_210
.LBB17_53:                              ;   in Loop: Header=BB17_55 Depth=2
	s_or_b64 exec, exec, s[8:9]
	s_waitcnt vmcnt(0)
	s_barrier
	ds_read_b32 v23, v36
.LBB17_54:                              ;   in Loop: Header=BB17_55 Depth=2
	ds_read2_b32 v[30:31], v36 offset0:5 offset1:7
	s_waitcnt lgkmcnt(0)
	v_cmp_le_i32_e32 vcc, v23, v30
	v_cmp_gt_i32_e64 s[6:7], s28, v31
	s_and_b64 s[6:7], vcc, s[6:7]
	s_andn2_b64 vcc, exec, s[6:7]
	s_cbranch_vccnz .LBB17_50
.LBB17_55:                              ;   Parent Loop BB17_7 Depth=1
                                        ; =>  This Loop Header: Depth=2
                                        ;       Child Loop BB17_61 Depth 3
                                        ;       Child Loop BB17_81 Depth 3
	;; [unrolled: 1-line block ×3, first 2 shown]
                                        ;         Child Loop BB17_129 Depth 4
	s_and_saveexec_b64 s[64:65], s[0:1]
	s_cbranch_execz .LBB17_124
; %bb.56:                               ;   in Loop: Header=BB17_55 Depth=2
	v_cmp_lt_i32_e32 vcc, v23, v30
	s_mov_b64 s[6:7], 0
	s_cbranch_vccnz .LBB17_58
; %bb.57:                               ;   in Loop: Header=BB17_55 Depth=2
	v_ashrrev_i32_e32 v24, 31, v23
	v_mov_b32_e32 v25, v24
	s_mov_b64 s[8:9], -1
	v_mov_b32_e32 v24, v23
	v_mov_b32_e32 v26, v23
	s_cbranch_execz .LBB17_59
	s_branch .LBB17_64
.LBB17_58:                              ;   in Loop: Header=BB17_55 Depth=2
                                        ; implicit-def: $vgpr24_vgpr25
	s_mov_b64 s[8:9], 0
	v_mov_b32_e32 v26, v23
.LBB17_59:                              ;   in Loop: Header=BB17_55 Depth=2
	v_ashrrev_i32_e32 v24, 31, v23
	v_lshlrev_b64 v[19:20], 2, v[23:24]
	v_mov_b32_e32 v16, s33
	v_add_co_u32_e32 v25, vcc, s14, v19
	v_addc_co_u32_e32 v26, vcc, v16, v20, vcc
	v_mov_b32_e32 v16, s93
	v_add_co_u32_e32 v21, vcc, s92, v19
	v_addc_co_u32_e32 v22, vcc, v16, v20, vcc
	v_mov_b32_e32 v27, v23
	s_branch .LBB17_61
.LBB17_60:                              ;   in Loop: Header=BB17_61 Depth=3
	v_add_co_u32_e32 v25, vcc, 4, v19
	v_addc_co_u32_e32 v26, vcc, 0, v20, vcc
	v_add_u32_e32 v27, 1, v16
	v_add_co_u32_e32 v21, vcc, 4, v21
	v_addc_co_u32_e32 v22, vcc, 0, v22, vcc
	s_mov_b64 s[6:7], 0
	v_cmp_ge_i32_e64 s[8:9], v27, v30
	s_andn2_b64 vcc, exec, s[8:9]
	s_cbranch_vccz .LBB17_63
.LBB17_61:                              ;   Parent Loop BB17_7 Depth=1
                                        ;     Parent Loop BB17_55 Depth=2
                                        ; =>    This Inner Loop Header: Depth=3
	v_mov_b32_e32 v19, v25
	v_mov_b32_e32 v20, v26
	global_load_dwordx2 v[25:26], v[21:22], off
	global_load_dword v28, v[19:20], off
	v_mov_b32_e32 v16, v27
	s_waitcnt vmcnt(1)
	v_mul_f32_e32 v25, v25, v26
	s_waitcnt vmcnt(0)
	v_mul_f32_e32 v26, v28, v28
	v_mul_f32_e64 v25, v37, |v25|
	v_cmp_le_f32_e64 s[6:7], |v26|, v25
	s_and_b64 vcc, exec, s[6:7]
	s_cbranch_vccz .LBB17_60
; %bb.62:                               ;   in Loop: Header=BB17_55 Depth=2
	s_mov_b64 s[6:7], -1
                                        ; implicit-def: $vgpr27
                                        ; implicit-def: $vgpr25_vgpr26
                                        ; implicit-def: $vgpr21_vgpr22
.LBB17_63:                              ;   in Loop: Header=BB17_55 Depth=2
	v_mov_b32_e32 v21, v23
	v_mov_b32_e32 v22, v24
	;; [unrolled: 1-line block ×3, first 2 shown]
	s_xor_b64 s[8:9], s[6:7], -1
	s_mov_b64 s[6:7], -1
	v_mov_b32_e32 v26, v30
	v_mov_b32_e32 v24, v23
.LBB17_64:                              ;   in Loop: Header=BB17_55 Depth=2
	s_and_b64 vcc, exec, s[8:9]
	s_cbranch_vccnz .LBB17_93
; %bb.65:                               ;   in Loop: Header=BB17_55 Depth=2
	s_andn2_b64 vcc, exec, s[6:7]
	s_cbranch_vccnz .LBB17_67
.LBB17_66:                              ;   in Loop: Header=BB17_55 Depth=2
	v_mov_b32_e32 v25, v22
	v_mov_b32_e32 v24, v21
	;; [unrolled: 1-line block ×3, first 2 shown]
	ds_write2_b32 v36, v16, v23 offset0:1 offset1:4
	global_store_dword v[19:20], v36, off
.LBB17_67:                              ;   in Loop: Header=BB17_55 Depth=2
	v_lshlrev_b64 v[27:28], 2, v[24:25]
	v_mov_b32_e32 v25, s23
	v_add_co_u32_e32 v24, vcc, s22, v27
	v_addc_co_u32_e32 v25, vcc, v25, v28, vcc
	global_load_dword v35, v[24:25], off
	v_cmp_ne_u32_e32 vcc, v26, v23
	v_add_u32_e32 v29, 1, v23
	s_waitcnt vmcnt(0)
	ds_write_b32 v36, v35 offset:8
	s_and_saveexec_b64 s[6:7], vcc
	s_xor_b64 s[66:67], exec, s[6:7]
	s_cbranch_execz .LBB17_121
; %bb.68:                               ;   in Loop: Header=BB17_55 Depth=2
	v_cmp_ne_u32_e32 vcc, v26, v29
	s_and_saveexec_b64 s[6:7], vcc
	s_xor_b64 s[8:9], exec, s[6:7]
	s_cbranch_execz .LBB17_97
; %bb.69:                               ;   in Loop: Header=BB17_55 Depth=2
	v_mov_b32_e32 v30, s33
	v_add_co_u32_e32 v29, vcc, s14, v27
	v_addc_co_u32_e32 v30, vcc, v30, v28, vcc
	global_load_dword v32, v[24:25], off offset:4
	global_load_dword v44, v[29:30], off
	v_ashrrev_i32_e32 v27, 31, v26
	v_mov_b32_e32 v48, s23
	v_add_u32_e32 v31, 1, v31
	ds_write2_b32 v36, v36, v31 offset0:2 offset1:7
	s_waitcnt vmcnt(1)
	v_sub_f32_e32 v34, v32, v35
	s_waitcnt vmcnt(0)
	v_add_f32_e32 v46, v44, v44
	v_div_scale_f32 v28, s[6:7], v46, v46, v34
	v_div_scale_f32 v45, vcc, v34, v46, v34
	v_lshlrev_b64 v[32:33], 2, v[26:27]
	v_rcp_f32_e32 v47, v28
	v_fma_f32 v27, -v28, v47, 1.0
	v_fmac_f32_e32 v47, v27, v47
	v_mul_f32_e32 v27, v45, v47
	v_fma_f32 v49, -v28, v27, v45
	v_fmac_f32_e32 v27, v49, v47
	v_fma_f32 v28, -v28, v27, v45
	v_div_fmas_f32 v47, v28, v47, v27
	v_add_co_u32_e32 v27, vcc, s22, v32
	v_addc_co_u32_e32 v28, vcc, v48, v33, vcc
	global_load_dword v45, v[27:28], off
	v_div_fixup_f32 v34, v47, v46, v34
	v_fma_f32 v46, v34, v34, 1.0
	v_mul_f32_e32 v47, 0x4f800000, v46
	v_cmp_gt_f32_e32 vcc, s52, v46
	v_cndmask_b32_e32 v46, v46, v47, vcc
	v_sqrt_f32_e32 v47, v46
	v_add_u32_e32 v48, -1, v47
	v_add_u32_e32 v49, 1, v47
	v_fma_f32 v50, -v48, v47, v46
	v_fma_f32 v51, -v49, v47, v46
	v_cmp_ge_f32_e64 s[6:7], 0, v50
	v_cndmask_b32_e64 v47, v47, v48, s[6:7]
	v_cmp_lt_f32_e64 s[6:7], 0, v51
	v_cndmask_b32_e64 v47, v47, v49, s[6:7]
	v_mul_f32_e32 v48, 0x37800000, v47
	v_cndmask_b32_e32 v47, v47, v48, vcc
	v_cmp_class_f32_e32 vcc, v46, v40
	v_cndmask_b32_e32 v46, v47, v46, vcc
	v_cmp_nle_f32_e32 vcc, 0, v34
	v_cndmask_b32_e64 v46, |v46|, -|v46|, vcc
	v_add_f32_e32 v46, v34, v46
	v_div_scale_f32 v34, s[6:7], v46, v46, v44
	v_div_scale_f32 v47, vcc, v44, v46, v44
	v_rcp_f32_e32 v48, v34
	v_fma_f32 v49, -v34, v48, 1.0
	v_fmac_f32_e32 v48, v49, v48
	v_mul_f32_e32 v49, v47, v48
	v_fma_f32 v50, -v34, v49, v47
	v_fmac_f32_e32 v49, v50, v48
	v_fma_f32 v34, -v34, v49, v47
	v_div_fmas_f32 v47, v34, v48, v49
	v_mov_b32_e32 v34, 0
	v_cmp_gt_i32_e32 vcc, v26, v23
	v_div_fixup_f32 v44, v47, v46, v44
	s_waitcnt vmcnt(0)
	v_sub_f32_e32 v31, v45, v35
	v_add_f32_e32 v44, v31, v44
	s_and_saveexec_b64 s[68:69], vcc
	s_cbranch_execz .LBB17_96
; %bb.70:                               ;   in Loop: Header=BB17_55 Depth=2
	v_mov_b32_e32 v31, s33
	v_add_co_u32_e32 v34, vcc, s14, v32
	v_addc_co_u32_e32 v35, vcc, v31, v33, vcc
	global_load_dword v46, v[34:35], off offset:-4
	v_mov_b32_e32 v47, 0
	v_mov_b32_e32 v35, 1.0
	s_waitcnt vmcnt(0)
	v_cmp_neq_f32_e32 vcc, 0, v46
	s_and_saveexec_b64 s[70:71], vcc
	s_cbranch_execz .LBB17_78
; %bb.71:                               ;   in Loop: Header=BB17_55 Depth=2
	v_mov_b32_e32 v35, 0
	v_cmp_neq_f32_e32 vcc, 0, v44
	v_mov_b32_e32 v47, 1.0
	s_and_saveexec_b64 s[72:73], vcc
	s_cbranch_execz .LBB17_77
; %bb.72:                               ;   in Loop: Header=BB17_55 Depth=2
	v_cmp_ngt_f32_e64 s[6:7], |v46|, |v44|
                                        ; implicit-def: $vgpr47
                                        ; implicit-def: $vgpr35
	s_and_saveexec_b64 s[74:75], s[6:7]
	s_xor_b64 s[74:75], exec, s[74:75]
	s_cbranch_execz .LBB17_74
; %bb.73:                               ;   in Loop: Header=BB17_55 Depth=2
	v_div_scale_f32 v31, s[6:7], v44, v44, -v46
	v_div_scale_f32 v34, vcc, -v46, v44, -v46
	v_rcp_f32_e32 v35, v31
	v_fma_f32 v47, -v31, v35, 1.0
	v_fmac_f32_e32 v35, v47, v35
	v_mul_f32_e32 v47, v34, v35
	v_fma_f32 v48, -v31, v47, v34
	v_fmac_f32_e32 v47, v48, v35
	v_fma_f32 v31, -v31, v47, v34
	v_div_fmas_f32 v31, v31, v35, v47
	v_div_fixup_f32 v31, v31, v44, -v46
	v_fma_f32 v34, v31, v31, 1.0
	v_mul_f32_e32 v35, 0x4f800000, v34
	v_cmp_gt_f32_e32 vcc, s52, v34
	v_cndmask_b32_e32 v34, v34, v35, vcc
	v_sqrt_f32_e32 v35, v34
	v_add_u32_e32 v44, -1, v35
	v_add_u32_e32 v47, 1, v35
	v_fma_f32 v48, -v44, v35, v34
	v_fma_f32 v49, -v47, v35, v34
	v_cmp_ge_f32_e64 s[6:7], 0, v48
	v_cndmask_b32_e64 v35, v35, v44, s[6:7]
	v_cmp_lt_f32_e64 s[6:7], 0, v49
	v_cndmask_b32_e64 v35, v35, v47, s[6:7]
	v_mul_f32_e32 v44, 0x37800000, v35
	v_cndmask_b32_e32 v35, v35, v44, vcc
	v_cmp_class_f32_e32 vcc, v34, v40
	v_cndmask_b32_e32 v34, v35, v34, vcc
	v_div_scale_f32 v35, s[6:7], v34, v34, 1.0
	v_div_scale_f32 v44, vcc, 1.0, v34, 1.0
	v_rcp_f32_e32 v47, v35
	v_fma_f32 v48, -v35, v47, 1.0
	v_fmac_f32_e32 v47, v48, v47
	v_mul_f32_e32 v48, v44, v47
	v_fma_f32 v49, -v35, v48, v44
	v_fmac_f32_e32 v48, v49, v47
	v_fma_f32 v35, -v35, v48, v44
	v_div_fmas_f32 v35, v35, v47, v48
                                        ; implicit-def: $vgpr44
	v_div_fixup_f32 v35, v35, v34, 1.0
	v_mul_f32_e32 v47, v31, v35
.LBB17_74:                              ;   in Loop: Header=BB17_55 Depth=2
	s_andn2_saveexec_b64 s[74:75], s[74:75]
	s_cbranch_execz .LBB17_76
; %bb.75:                               ;   in Loop: Header=BB17_55 Depth=2
	v_div_scale_f32 v31, s[6:7], v46, v46, -v44
	v_div_scale_f32 v34, vcc, -v44, v46, -v44
	v_rcp_f32_e32 v35, v31
	v_fma_f32 v47, -v31, v35, 1.0
	v_fmac_f32_e32 v35, v47, v35
	v_mul_f32_e32 v47, v34, v35
	v_fma_f32 v48, -v31, v47, v34
	v_fmac_f32_e32 v47, v48, v35
	v_fma_f32 v31, -v31, v47, v34
	v_div_fmas_f32 v31, v31, v35, v47
	v_div_fixup_f32 v31, v31, v46, -v44
	v_fma_f32 v34, v31, v31, 1.0
	v_mul_f32_e32 v35, 0x4f800000, v34
	v_cmp_gt_f32_e32 vcc, s52, v34
	v_cndmask_b32_e32 v34, v34, v35, vcc
	v_sqrt_f32_e32 v35, v34
	v_add_u32_e32 v44, -1, v35
	v_add_u32_e32 v47, 1, v35
	v_fma_f32 v48, -v44, v35, v34
	v_fma_f32 v49, -v47, v35, v34
	v_cmp_ge_f32_e64 s[6:7], 0, v48
	v_cndmask_b32_e64 v35, v35, v44, s[6:7]
	v_cmp_lt_f32_e64 s[6:7], 0, v49
	v_cndmask_b32_e64 v35, v35, v47, s[6:7]
	v_mul_f32_e32 v44, 0x37800000, v35
	v_cndmask_b32_e32 v35, v35, v44, vcc
	v_cmp_class_f32_e32 vcc, v34, v40
	v_cndmask_b32_e32 v34, v35, v34, vcc
	v_div_scale_f32 v35, s[6:7], v34, v34, 1.0
	v_div_scale_f32 v44, vcc, 1.0, v34, 1.0
	v_rcp_f32_e32 v47, v35
	v_fma_f32 v48, -v35, v47, 1.0
	v_fmac_f32_e32 v47, v48, v47
	v_mul_f32_e32 v48, v44, v47
	v_fma_f32 v49, -v35, v48, v44
	v_fmac_f32_e32 v48, v49, v47
	v_fma_f32 v35, -v35, v48, v44
	v_div_fmas_f32 v35, v35, v47, v48
	v_div_fixup_f32 v47, v35, v34, 1.0
	v_mul_f32_e32 v35, v31, v47
.LBB17_76:                              ;   in Loop: Header=BB17_55 Depth=2
	s_or_b64 exec, exec, s[74:75]
.LBB17_77:                              ;   in Loop: Header=BB17_55 Depth=2
	s_or_b64 exec, exec, s[72:73]
.LBB17_78:                              ;   in Loop: Header=BB17_55 Depth=2
	s_or_b64 exec, exec, s[70:71]
	global_load_dword v34, v[27:28], off offset:-4
	v_mov_b32_e32 v48, s91
	v_add_co_u32_e32 v32, vcc, s90, v32
	v_addc_co_u32_e32 v33, vcc, v48, v33, vcc
	v_add_co_u32_e32 v48, vcc, -4, v32
	v_addc_co_u32_e32 v50, vcc, -1, v33, vcc
	v_add_f32_e32 v44, v35, v35
	v_mov_b32_e32 v49, s49
	v_add_co_u32_e32 v48, vcc, s48, v48
	v_add_u32_e32 v31, -1, v26
	v_addc_co_u32_e32 v49, vcc, v50, v49, vcc
	v_cmp_gt_i32_e32 vcc, v31, v23
	s_waitcnt vmcnt(0)
	v_sub_f32_e32 v34, v34, v45
	v_mul_f32_e32 v34, v47, v34
	v_fma_f32 v44, v46, v44, -v34
	v_mul_f32_e64 v34, v44, -v47
	v_fma_f32 v45, v44, -v47, v45
	v_fma_f32 v44, v35, v44, -v46
	ds_write_b32 v36, v34 offset:8
	global_store_dword v[27:28], v45, off
	global_store_dword v[32:33], v35, off offset:-4
	global_store_dword v[48:49], v47, off offset:-4
	s_and_saveexec_b64 s[70:71], vcc
	s_cbranch_execz .LBB17_95
; %bb.79:                               ;   in Loop: Header=BB17_55 Depth=2
	v_ashrrev_i32_e32 v32, 31, v31
	v_lshlrev_b64 v[27:28], 2, v[31:32]
	v_readlane_b32 s78, v60, 2
	v_readlane_b32 s80, v60, 0
	v_xor_b32_e32 v45, 0x80000000, v47
	s_mov_b32 s41, -1
	s_mov_b64 s[72:73], 0
	s_mov_b64 s[74:75], s[54:55]
	;; [unrolled: 1-line block ×3, first 2 shown]
	v_readlane_b32 s79, v60, 3
	v_readlane_b32 s81, v60, 1
	s_branch .LBB17_81
.LBB17_80:                              ;   in Loop: Header=BB17_81 Depth=3
	v_mov_b32_e32 v32, s77
	v_add_co_u32_e32 v31, vcc, s76, v27
	v_addc_co_u32_e32 v32, vcc, v32, v28, vcc
	global_load_dwordx2 v[48:49], v[31:32], off offset:-4
	v_add_co_u32_e32 v50, vcc, s80, v27
	s_add_u32 s80, s80, -4
	v_mov_b32_e32 v51, s81
	s_addc_u32 s81, s81, -1
	v_add_co_u32_e64 v52, s[6:7], s78, v27
	s_add_u32 s78, s78, -4
	v_mov_b32_e32 v44, s79
	s_addc_u32 s79, s79, -1
	s_add_i32 s41, s41, -1
	v_addc_co_u32_e64 v53, s[6:7], v44, v28, s[6:7]
	v_addc_co_u32_e32 v51, vcc, v51, v28, vcc
	v_add_u32_e32 v44, s41, v26
	s_add_u32 s76, s76, -4
	v_cmp_le_i32_e32 vcc, v44, v23
	s_addc_u32 s77, s77, -1
	v_mul_f32_e32 v33, v35, v33
	v_add_f32_e32 v35, v46, v46
	s_add_u32 s74, s74, -4
	s_addc_u32 s75, s75, -1
	v_xor_b32_e32 v45, 0x80000000, v47
	s_or_b64 s[72:73], vcc, s[72:73]
	s_waitcnt vmcnt(0)
	v_sub_f32_e32 v44, v49, v34
	v_sub_f32_e32 v34, v48, v44
	v_mul_f32_e32 v34, v47, v34
	v_fma_f32 v35, v33, v35, -v34
	v_mul_f32_e64 v34, v35, -v47
	v_fma_f32 v48, v35, -v47, v44
	v_fma_f32 v44, v46, v35, -v33
	v_mov_b32_e32 v35, v46
	global_store_dword v[31:32], v48, off
	global_store_dword v[52:53], v46, off
	;; [unrolled: 1-line block ×3, first 2 shown]
	s_andn2_b64 exec, exec, s[72:73]
	s_cbranch_execz .LBB17_94
.LBB17_81:                              ;   Parent Loop BB17_7 Depth=1
                                        ;     Parent Loop BB17_55 Depth=2
                                        ; =>    This Inner Loop Header: Depth=3
	v_mov_b32_e32 v32, s75
	v_add_co_u32_e32 v31, vcc, s74, v27
	v_addc_co_u32_e32 v32, vcc, v32, v28, vcc
	global_load_dword v33, v[31:32], off
	v_mov_b32_e32 v47, 0
	v_mov_b32_e32 v46, 1.0
	s_waitcnt vmcnt(0)
	v_mul_f32_e32 v45, v45, v33
	v_cmp_neq_f32_e32 vcc, 0, v45
	s_and_saveexec_b64 s[82:83], vcc
	s_cbranch_execz .LBB17_91
; %bb.82:                               ;   in Loop: Header=BB17_81 Depth=3
	v_cmp_neq_f32_e32 vcc, 0, v44
	v_xor_b32_e32 v48, 0x80000000, v45
                                        ; implicit-def: $vgpr47
                                        ; implicit-def: $vgpr46
	s_and_saveexec_b64 s[6:7], vcc
	s_xor_b64 s[84:85], exec, s[6:7]
	s_cbranch_execz .LBB17_88
; %bb.83:                               ;   in Loop: Header=BB17_81 Depth=3
	v_cmp_ngt_f32_e64 s[6:7], |v45|, |v44|
                                        ; implicit-def: $vgpr47
                                        ; implicit-def: $vgpr46
	s_and_saveexec_b64 s[86:87], s[6:7]
	s_xor_b64 s[86:87], exec, s[86:87]
	s_cbranch_execz .LBB17_85
; %bb.84:                               ;   in Loop: Header=BB17_81 Depth=3
	v_div_scale_f32 v46, s[6:7], v44, v44, -v45
	v_div_scale_f32 v47, vcc, -v45, v44, -v45
	v_rcp_f32_e32 v48, v46
	v_fma_f32 v49, -v46, v48, 1.0
	v_fmac_f32_e32 v48, v49, v48
	v_mul_f32_e32 v49, v47, v48
	v_fma_f32 v50, -v46, v49, v47
	v_fmac_f32_e32 v49, v50, v48
	v_fma_f32 v46, -v46, v49, v47
	v_div_fmas_f32 v46, v46, v48, v49
	v_div_fixup_f32 v47, v46, v44, -v45
	v_fma_f32 v46, v47, v47, 1.0
	v_mul_f32_e32 v48, 0x4f800000, v46
	v_cmp_gt_f32_e32 vcc, s52, v46
	v_cndmask_b32_e32 v46, v46, v48, vcc
	v_sqrt_f32_e32 v48, v46
	v_add_u32_e32 v49, -1, v48
	v_add_u32_e32 v50, 1, v48
	v_fma_f32 v51, -v49, v48, v46
	v_fma_f32 v52, -v50, v48, v46
	v_cmp_ge_f32_e64 s[6:7], 0, v51
	v_cndmask_b32_e64 v48, v48, v49, s[6:7]
	v_cmp_lt_f32_e64 s[6:7], 0, v52
	v_cndmask_b32_e64 v48, v48, v50, s[6:7]
	v_mul_f32_e32 v49, 0x37800000, v48
	v_cndmask_b32_e32 v48, v48, v49, vcc
	v_cmp_class_f32_e32 vcc, v46, v40
	v_cndmask_b32_e32 v46, v48, v46, vcc
	v_div_scale_f32 v48, s[6:7], v46, v46, 1.0
	v_div_scale_f32 v49, vcc, 1.0, v46, 1.0
	v_rcp_f32_e32 v50, v48
	v_fma_f32 v51, -v48, v50, 1.0
	v_fmac_f32_e32 v50, v51, v50
	v_mul_f32_e32 v51, v49, v50
	v_fma_f32 v52, -v48, v51, v49
	v_fmac_f32_e32 v51, v52, v50
	v_fma_f32 v48, -v48, v51, v49
	v_div_fmas_f32 v48, v48, v50, v51
	v_div_fixup_f32 v46, v48, v46, 1.0
	v_mul_f32_e32 v47, v47, v46
.LBB17_85:                              ;   in Loop: Header=BB17_81 Depth=3
	s_andn2_saveexec_b64 s[86:87], s[86:87]
	s_cbranch_execz .LBB17_87
; %bb.86:                               ;   in Loop: Header=BB17_81 Depth=3
	v_div_scale_f32 v46, s[6:7], v45, v45, -v44
	v_div_scale_f32 v47, vcc, -v44, v45, -v44
	v_rcp_f32_e32 v48, v46
	v_fma_f32 v49, -v46, v48, 1.0
	v_fmac_f32_e32 v48, v49, v48
	v_mul_f32_e32 v49, v47, v48
	v_fma_f32 v50, -v46, v49, v47
	v_fmac_f32_e32 v49, v50, v48
	v_fma_f32 v46, -v46, v49, v47
	v_div_fmas_f32 v46, v46, v48, v49
	v_div_fixup_f32 v46, v46, v45, -v44
	v_fma_f32 v47, v46, v46, 1.0
	v_mul_f32_e32 v48, 0x4f800000, v47
	v_cmp_gt_f32_e32 vcc, s52, v47
	v_cndmask_b32_e32 v47, v47, v48, vcc
	v_sqrt_f32_e32 v48, v47
	v_add_u32_e32 v49, -1, v48
	v_add_u32_e32 v50, 1, v48
	v_fma_f32 v51, -v49, v48, v47
	v_fma_f32 v52, -v50, v48, v47
	v_cmp_ge_f32_e64 s[6:7], 0, v51
	v_cndmask_b32_e64 v48, v48, v49, s[6:7]
	v_cmp_lt_f32_e64 s[6:7], 0, v52
	v_cndmask_b32_e64 v48, v48, v50, s[6:7]
	v_mul_f32_e32 v49, 0x37800000, v48
	v_cndmask_b32_e32 v48, v48, v49, vcc
	v_cmp_class_f32_e32 vcc, v47, v40
	v_cndmask_b32_e32 v47, v48, v47, vcc
	v_div_scale_f32 v48, s[6:7], v47, v47, 1.0
	v_div_scale_f32 v49, vcc, 1.0, v47, 1.0
	v_rcp_f32_e32 v50, v48
	v_fma_f32 v51, -v48, v50, 1.0
	v_fmac_f32_e32 v50, v51, v50
	v_mul_f32_e32 v51, v49, v50
	v_fma_f32 v52, -v48, v51, v49
	v_fmac_f32_e32 v51, v52, v50
	v_fma_f32 v48, -v48, v51, v49
	v_div_fmas_f32 v48, v48, v50, v51
	v_div_fixup_f32 v47, v48, v47, 1.0
	v_mul_f32_e32 v46, v46, v47
.LBB17_87:                              ;   in Loop: Header=BB17_81 Depth=3
	s_or_b64 exec, exec, s[86:87]
	v_mul_f32_e32 v45, v45, v47
	v_fma_f32 v48, v44, v46, -v45
.LBB17_88:                              ;   in Loop: Header=BB17_81 Depth=3
	s_andn2_saveexec_b64 s[6:7], s[84:85]
; %bb.89:                               ;   in Loop: Header=BB17_81 Depth=3
	v_mov_b32_e32 v46, 0
	v_mov_b32_e32 v47, 1.0
; %bb.90:                               ;   in Loop: Header=BB17_81 Depth=3
	s_or_b64 exec, exec, s[6:7]
	v_mov_b32_e32 v44, v48
.LBB17_91:                              ;   in Loop: Header=BB17_81 Depth=3
	s_or_b64 exec, exec, s[82:83]
	s_cmp_eq_u32 s41, 0
	s_cbranch_scc1 .LBB17_80
; %bb.92:                               ;   in Loop: Header=BB17_81 Depth=3
	global_store_dword v[31:32], v44, off offset:4
	s_branch .LBB17_80
.LBB17_93:                              ;   in Loop: Header=BB17_55 Depth=2
	ds_write2_b32 v36, v26, v23 offset0:1 offset1:4
	s_cbranch_execz .LBB17_66
	s_branch .LBB17_67
.LBB17_94:                              ;   in Loop: Header=BB17_55 Depth=2
	s_or_b64 exec, exec, s[72:73]
	s_mov_b32 s80, 0x667f3bcd
	s_mov_b32 s81, 0x3ff6a09e
	ds_write_b32 v36, v34 offset:8
.LBB17_95:                              ;   in Loop: Header=BB17_55 Depth=2
	s_or_b64 exec, exec, s[70:71]
	global_load_dword v35, v[24:25], off
.LBB17_96:                              ;   in Loop: Header=BB17_55 Depth=2
	s_or_b64 exec, exec, s[68:69]
	s_waitcnt vmcnt(0)
	v_sub_f32_e32 v23, v35, v34
	global_store_dword v[24:25], v23, off
	global_store_dword v[29:30], v44, off
                                        ; implicit-def: $vgpr27_vgpr28
                                        ; implicit-def: $vgpr24_vgpr25
                                        ; implicit-def: $vgpr23
                                        ; implicit-def: $vgpr35
.LBB17_97:                              ;   in Loop: Header=BB17_55 Depth=2
	s_andn2_saveexec_b64 s[68:69], s[8:9]
	s_cbranch_execz .LBB17_130
; %bb.98:                               ;   in Loop: Header=BB17_55 Depth=2
	v_mov_b32_e32 v26, s33
	v_add_co_u32_e32 v29, vcc, s14, v27
	v_addc_co_u32_e32 v30, vcc, v26, v28, vcc
	global_load_dword v31, v[24:25], off offset:4
	global_load_dword v44, v[29:30], off
                                        ; implicit-def: $vgpr34
	s_waitcnt vmcnt(1)
	v_sub_f32_e32 v33, v35, v31
	s_waitcnt vmcnt(0)
	v_add_f32_e32 v26, v44, v44
	v_and_b32_e32 v32, 0x7fffffff, v26
	v_cmp_ngt_f32_e64 s[6:7], |v33|, |v26|
	s_and_saveexec_b64 s[8:9], s[6:7]
	s_xor_b64 s[8:9], exec, s[8:9]
	s_cbranch_execz .LBB17_104
; %bb.99:                               ;   in Loop: Header=BB17_55 Depth=2
	v_cmp_nlt_f32_e64 s[6:7], |v33|, |v26|
                                        ; implicit-def: $vgpr34
	s_and_saveexec_b64 s[70:71], s[6:7]
	s_xor_b64 s[6:7], exec, s[70:71]
	s_cbranch_execz .LBB17_101
; %bb.100:                              ;   in Loop: Header=BB17_55 Depth=2
	v_cvt_f64_f32_e32 v[45:46], v32
                                        ; implicit-def: $vgpr32
	v_mul_f64 v[45:46], v[45:46], s[80:81]
	v_cvt_f32_f64_e32 v34, v[45:46]
.LBB17_101:                             ;   in Loop: Header=BB17_55 Depth=2
	s_andn2_saveexec_b64 s[70:71], s[6:7]
	s_cbranch_execz .LBB17_103
; %bb.102:                              ;   in Loop: Header=BB17_55 Depth=2
	v_and_b32_e32 v34, 0x7fffffff, v33
	v_div_scale_f32 v45, s[6:7], v32, v32, v34
	v_div_scale_f32 v32, vcc, v34, v32, v34
	v_rcp_f32_e32 v46, v45
	v_fma_f32 v47, -v45, v46, 1.0
	v_fmac_f32_e32 v46, v47, v46
	v_mul_f32_e32 v34, v32, v46
	v_fma_f32 v47, -v45, v34, v32
	v_fmac_f32_e32 v34, v47, v46
	v_fma_f32 v32, -v45, v34, v32
	v_div_fmas_f32 v32, v32, v46, v34
	v_div_fixup_f32 v32, v32, |v26|, |v33|
	v_fma_f32 v32, v32, v32, 1.0
	v_cmp_gt_f32_e32 vcc, s52, v32
	v_mul_f32_e32 v34, 0x4f800000, v32
	v_cndmask_b32_e32 v32, v32, v34, vcc
	v_sqrt_f32_e32 v34, v32
	v_add_u32_e32 v45, -1, v34
	v_fma_f32 v46, -v45, v34, v32
	v_cmp_ge_f32_e64 s[6:7], 0, v46
	v_add_u32_e32 v46, 1, v34
	v_cndmask_b32_e64 v45, v34, v45, s[6:7]
	v_fma_f32 v34, -v46, v34, v32
	v_cmp_lt_f32_e64 s[6:7], 0, v34
	v_cndmask_b32_e64 v34, v45, v46, s[6:7]
	v_mul_f32_e32 v45, 0x37800000, v34
	v_cndmask_b32_e32 v34, v34, v45, vcc
	v_cmp_class_f32_e32 vcc, v32, v40
	v_cndmask_b32_e32 v32, v34, v32, vcc
	v_mul_f32_e64 v34, |v26|, v32
.LBB17_103:                             ;   in Loop: Header=BB17_55 Depth=2
	s_or_b64 exec, exec, s[70:71]
                                        ; implicit-def: $vgpr32
.LBB17_104:                             ;   in Loop: Header=BB17_55 Depth=2
	s_andn2_saveexec_b64 s[8:9], s[8:9]
	s_cbranch_execz .LBB17_106
; %bb.105:                              ;   in Loop: Header=BB17_55 Depth=2
	v_and_b32_e32 v34, 0x7fffffff, v33
	v_div_scale_f32 v45, s[6:7], v34, v34, v32
	v_div_scale_f32 v32, vcc, v32, v34, v32
	v_rcp_f32_e32 v46, v45
	v_fma_f32 v47, -v45, v46, 1.0
	v_fmac_f32_e32 v46, v47, v46
	v_mul_f32_e32 v34, v32, v46
	v_fma_f32 v47, -v45, v34, v32
	v_fmac_f32_e32 v34, v47, v46
	v_fma_f32 v32, -v45, v34, v32
	v_div_fmas_f32 v32, v32, v46, v34
	v_div_fixup_f32 v32, v32, |v33|, |v26|
	v_fma_f32 v32, v32, v32, 1.0
	v_cmp_gt_f32_e32 vcc, s52, v32
	v_mul_f32_e32 v34, 0x4f800000, v32
	v_cndmask_b32_e32 v32, v32, v34, vcc
	v_sqrt_f32_e32 v34, v32
	v_add_u32_e32 v45, -1, v34
	v_fma_f32 v46, -v45, v34, v32
	v_cmp_ge_f32_e64 s[6:7], 0, v46
	v_add_u32_e32 v46, 1, v34
	v_cndmask_b32_e64 v45, v34, v45, s[6:7]
	v_fma_f32 v34, -v46, v34, v32
	v_cmp_lt_f32_e64 s[6:7], 0, v34
	v_cndmask_b32_e64 v34, v45, v46, s[6:7]
	v_mul_f32_e32 v45, 0x37800000, v34
	v_cndmask_b32_e32 v34, v34, v45, vcc
	v_cmp_class_f32_e32 vcc, v32, v40
	v_cndmask_b32_e32 v32, v34, v32, vcc
	v_mul_f32_e64 v34, |v33|, v32
.LBB17_106:                             ;   in Loop: Header=BB17_55 Depth=2
	s_or_b64 exec, exec, s[8:9]
	v_add_f32_e32 v46, v35, v31
	v_cmp_gt_f32_e64 vcc, |v35|, |v31|
	v_cndmask_b32_e32 v45, v35, v31, vcc
	v_cndmask_b32_e32 v47, v31, v35, vcc
	v_cmp_ngt_f32_e32 vcc, 0, v46
                                        ; implicit-def: $vgpr32
	s_and_saveexec_b64 s[6:7], vcc
	s_xor_b64 s[6:7], exec, s[6:7]
	s_cbranch_execz .LBB17_112
; %bb.107:                              ;   in Loop: Header=BB17_55 Depth=2
	v_cmp_nlt_f32_e32 vcc, 0, v46
                                        ; implicit-def: $vgpr32
	s_and_saveexec_b64 s[8:9], vcc
	s_xor_b64 s[8:9], exec, s[8:9]
; %bb.108:                              ;   in Loop: Header=BB17_55 Depth=2
	v_mul_f32_e32 v31, 0.5, v34
	v_mul_f32_e32 v32, -0.5, v34
                                        ; implicit-def: $vgpr46
                                        ; implicit-def: $vgpr47
                                        ; implicit-def: $vgpr45
                                        ; implicit-def: $vgpr44
; %bb.109:                              ;   in Loop: Header=BB17_55 Depth=2
	s_andn2_saveexec_b64 s[8:9], s[8:9]
	s_cbranch_execz .LBB17_111
; %bb.110:                              ;   in Loop: Header=BB17_55 Depth=2
	v_add_f32_e32 v31, v46, v34
	v_mul_f32_e32 v31, 0.5, v31
	v_cvt_f64_f32_e32 v[46:47], v47
	v_cvt_f64_f32_e32 v[48:49], v31
	v_div_scale_f64 v[50:51], s[70:71], v[48:49], v[48:49], v[46:47]
	v_rcp_f64_e32 v[52:53], v[50:51]
	v_fma_f64 v[54:55], -v[50:51], v[52:53], 1.0
	v_fma_f64 v[52:53], v[52:53], v[54:55], v[52:53]
	v_fma_f64 v[54:55], -v[50:51], v[52:53], 1.0
	v_fma_f64 v[52:53], v[52:53], v[54:55], v[52:53]
	v_div_scale_f64 v[54:55], vcc, v[46:47], v[48:49], v[46:47]
	v_mul_f64 v[56:57], v[54:55], v[52:53]
	v_fma_f64 v[50:51], -v[50:51], v[56:57], v[54:55]
	s_nop 1
	v_div_fmas_f64 v[50:51], v[50:51], v[52:53], v[56:57]
	v_div_fixup_f64 v[46:47], v[50:51], v[48:49], v[46:47]
	v_cvt_f64_f32_e32 v[50:51], v45
	v_cvt_f64_f32_e32 v[44:45], v44
	v_div_scale_f64 v[52:53], s[70:71], v[48:49], v[48:49], v[44:45]
	v_rcp_f64_e32 v[54:55], v[52:53]
	v_fma_f64 v[56:57], -v[52:53], v[54:55], 1.0
	v_fma_f64 v[54:55], v[54:55], v[56:57], v[54:55]
	v_fma_f64 v[56:57], -v[52:53], v[54:55], 1.0
	v_fma_f64 v[54:55], v[54:55], v[56:57], v[54:55]
	v_div_scale_f64 v[56:57], vcc, v[44:45], v[48:49], v[44:45]
	v_mul_f64 v[58:59], v[56:57], v[54:55]
	v_fma_f64 v[52:53], -v[52:53], v[58:59], v[56:57]
	s_nop 1
	v_div_fmas_f64 v[52:53], v[52:53], v[54:55], v[58:59]
	v_div_fixup_f64 v[48:49], v[52:53], v[48:49], v[44:45]
	v_mul_f64 v[44:45], v[48:49], v[44:45]
	v_fma_f64 v[44:45], v[46:47], v[50:51], -v[44:45]
	v_cvt_f32_f64_e32 v32, v[44:45]
.LBB17_111:                             ;   in Loop: Header=BB17_55 Depth=2
	s_or_b64 exec, exec, s[8:9]
                                        ; implicit-def: $vgpr46
                                        ; implicit-def: $vgpr47
                                        ; implicit-def: $vgpr45
                                        ; implicit-def: $vgpr44
.LBB17_112:                             ;   in Loop: Header=BB17_55 Depth=2
	s_or_saveexec_b64 s[6:7], s[6:7]
	v_mov_b32_e32 v35, 1
	s_xor_b64 exec, exec, s[6:7]
	s_cbranch_execz .LBB17_114
; %bb.113:                              ;   in Loop: Header=BB17_55 Depth=2
	v_sub_f32_e32 v31, v46, v34
	v_mul_f32_e32 v31, 0.5, v31
	v_cvt_f64_f32_e32 v[46:47], v47
	v_cvt_f64_f32_e32 v[48:49], v31
	v_mov_b32_e32 v35, -1
	v_div_scale_f64 v[50:51], s[8:9], v[48:49], v[48:49], v[46:47]
	v_rcp_f64_e32 v[52:53], v[50:51]
	v_fma_f64 v[54:55], -v[50:51], v[52:53], 1.0
	v_fma_f64 v[52:53], v[52:53], v[54:55], v[52:53]
	v_fma_f64 v[54:55], -v[50:51], v[52:53], 1.0
	v_fma_f64 v[52:53], v[52:53], v[54:55], v[52:53]
	v_div_scale_f64 v[54:55], vcc, v[46:47], v[48:49], v[46:47]
	v_mul_f64 v[56:57], v[54:55], v[52:53]
	v_fma_f64 v[50:51], -v[50:51], v[56:57], v[54:55]
	s_nop 1
	v_div_fmas_f64 v[50:51], v[50:51], v[52:53], v[56:57]
	v_div_fixup_f64 v[46:47], v[50:51], v[48:49], v[46:47]
	v_cvt_f64_f32_e32 v[50:51], v45
	v_cvt_f64_f32_e32 v[44:45], v44
	v_div_scale_f64 v[52:53], s[8:9], v[48:49], v[48:49], v[44:45]
	v_rcp_f64_e32 v[54:55], v[52:53]
	v_fma_f64 v[56:57], -v[52:53], v[54:55], 1.0
	v_fma_f64 v[54:55], v[54:55], v[56:57], v[54:55]
	v_fma_f64 v[56:57], -v[52:53], v[54:55], 1.0
	v_fma_f64 v[54:55], v[54:55], v[56:57], v[54:55]
	v_div_scale_f64 v[56:57], vcc, v[44:45], v[48:49], v[44:45]
	v_mul_f64 v[58:59], v[56:57], v[54:55]
	v_fma_f64 v[52:53], -v[52:53], v[58:59], v[56:57]
	s_nop 1
	v_div_fmas_f64 v[52:53], v[52:53], v[54:55], v[58:59]
	v_div_fixup_f64 v[48:49], v[52:53], v[48:49], v[44:45]
	v_mul_f64 v[44:45], v[48:49], v[44:45]
	v_fma_f64 v[44:45], v[46:47], v[50:51], -v[44:45]
	v_cvt_f32_f64_e32 v32, v[44:45]
.LBB17_114:                             ;   in Loop: Header=BB17_55 Depth=2
	s_or_b64 exec, exec, s[6:7]
	v_cmp_nle_f32_e64 s[6:7], 0, v33
	v_cndmask_b32_e64 v34, v34, -v34, s[6:7]
	v_add_f32_e32 v33, v33, v34
	v_cmp_ngt_f32_e64 s[8:9], |v33|, |v26|
                                        ; implicit-def: $vgpr44
                                        ; implicit-def: $vgpr34
	s_and_saveexec_b64 s[70:71], s[8:9]
	s_xor_b64 s[70:71], exec, s[70:71]
	s_cbranch_execz .LBB17_118
; %bb.115:                              ;   in Loop: Header=BB17_55 Depth=2
	v_mov_b32_e32 v34, 0
	v_cmp_neq_f32_e32 vcc, 0, v26
	v_mov_b32_e32 v44, 1.0
	s_and_saveexec_b64 s[72:73], vcc
	s_cbranch_execz .LBB17_117
; %bb.116:                              ;   in Loop: Header=BB17_55 Depth=2
	v_div_scale_f32 v34, s[8:9], v26, v26, -v33
	v_div_scale_f32 v44, vcc, -v33, v26, -v33
	v_rcp_f32_e32 v45, v34
	v_fma_f32 v46, -v34, v45, 1.0
	v_fmac_f32_e32 v45, v46, v45
	v_mul_f32_e32 v46, v44, v45
	v_fma_f32 v47, -v34, v46, v44
	v_fmac_f32_e32 v46, v47, v45
	v_fma_f32 v34, -v34, v46, v44
	v_div_fmas_f32 v34, v34, v45, v46
	v_div_fixup_f32 v26, v34, v26, -v33
	v_fma_f32 v33, v26, v26, 1.0
	v_mul_f32_e32 v34, 0x4f800000, v33
	v_cmp_gt_f32_e32 vcc, s52, v33
	v_cndmask_b32_e32 v33, v33, v34, vcc
	v_sqrt_f32_e32 v34, v33
	v_add_u32_e32 v44, -1, v34
	v_add_u32_e32 v45, 1, v34
	v_fma_f32 v46, -v44, v34, v33
	v_fma_f32 v47, -v45, v34, v33
	v_cmp_ge_f32_e64 s[8:9], 0, v46
	v_cndmask_b32_e64 v34, v34, v44, s[8:9]
	v_cmp_lt_f32_e64 s[8:9], 0, v47
	v_cndmask_b32_e64 v34, v34, v45, s[8:9]
	v_mul_f32_e32 v44, 0x37800000, v34
	v_cndmask_b32_e32 v34, v34, v44, vcc
	v_cmp_class_f32_e32 vcc, v33, v40
	v_cndmask_b32_e32 v33, v34, v33, vcc
	v_div_scale_f32 v34, s[8:9], v33, v33, 1.0
	v_div_scale_f32 v44, vcc, 1.0, v33, 1.0
	v_rcp_f32_e32 v45, v34
	v_fma_f32 v46, -v34, v45, 1.0
	v_fmac_f32_e32 v45, v46, v45
	v_mul_f32_e32 v46, v44, v45
	v_fma_f32 v47, -v34, v46, v44
	v_fmac_f32_e32 v46, v47, v45
	v_fma_f32 v34, -v34, v46, v44
	v_div_fmas_f32 v34, v34, v45, v46
	v_div_fixup_f32 v44, v34, v33, 1.0
	v_mul_f32_e32 v34, v26, v44
.LBB17_117:                             ;   in Loop: Header=BB17_55 Depth=2
	s_or_b64 exec, exec, s[72:73]
                                        ; implicit-def: $vgpr33
                                        ; implicit-def: $vgpr26
.LBB17_118:                             ;   in Loop: Header=BB17_55 Depth=2
	s_andn2_saveexec_b64 s[70:71], s[70:71]
	s_cbranch_execz .LBB17_120
; %bb.119:                              ;   in Loop: Header=BB17_55 Depth=2
	v_div_scale_f32 v34, s[8:9], v33, v33, -v26
	v_div_scale_f32 v44, vcc, -v26, v33, -v26
	v_rcp_f32_e32 v45, v34
	v_fma_f32 v46, -v34, v45, 1.0
	v_fmac_f32_e32 v45, v46, v45
	v_mul_f32_e32 v46, v44, v45
	v_fma_f32 v47, -v34, v46, v44
	v_fmac_f32_e32 v46, v47, v45
	v_fma_f32 v34, -v34, v46, v44
	v_div_fmas_f32 v34, v34, v45, v46
	v_div_fixup_f32 v26, v34, v33, -v26
	v_fma_f32 v33, v26, v26, 1.0
	v_mul_f32_e32 v34, 0x4f800000, v33
	v_cmp_gt_f32_e32 vcc, s52, v33
	v_cndmask_b32_e32 v33, v33, v34, vcc
	v_sqrt_f32_e32 v34, v33
	v_add_u32_e32 v44, -1, v34
	v_add_u32_e32 v45, 1, v34
	v_fma_f32 v46, -v44, v34, v33
	v_fma_f32 v47, -v45, v34, v33
	v_cmp_ge_f32_e64 s[8:9], 0, v46
	v_cndmask_b32_e64 v34, v34, v44, s[8:9]
	v_cmp_lt_f32_e64 s[8:9], 0, v47
	v_cndmask_b32_e64 v34, v34, v45, s[8:9]
	v_mul_f32_e32 v44, 0x37800000, v34
	v_cndmask_b32_e32 v34, v34, v44, vcc
	v_cmp_class_f32_e32 vcc, v33, v40
	v_cndmask_b32_e32 v33, v34, v33, vcc
	v_div_scale_f32 v34, s[8:9], v33, v33, 1.0
	v_div_scale_f32 v44, vcc, 1.0, v33, 1.0
	v_rcp_f32_e32 v45, v34
	v_fma_f32 v46, -v34, v45, 1.0
	v_fmac_f32_e32 v45, v46, v45
	v_mul_f32_e32 v46, v44, v45
	v_fma_f32 v47, -v34, v46, v44
	v_fmac_f32_e32 v46, v47, v45
	v_fma_f32 v34, -v34, v46, v44
	v_div_fmas_f32 v34, v34, v45, v46
	v_div_fixup_f32 v34, v34, v33, 1.0
	v_mul_f32_e32 v44, v26, v34
.LBB17_120:                             ;   in Loop: Header=BB17_55 Depth=2
	s_or_b64 exec, exec, s[70:71]
	v_cndmask_b32_e64 v26, 1, -1, s[6:7]
	v_cmp_eq_u32_e32 vcc, v35, v26
	v_cndmask_b32_e32 v33, v34, v44, vcc
	v_cndmask_b32_e64 v34, v44, -v34, vcc
	v_mov_b32_e32 v35, s91
	v_add_co_u32_e32 v26, vcc, s90, v27
	v_addc_co_u32_e32 v27, vcc, v35, v28, vcc
	global_store_dword v[26:27], v34, off
	v_mov_b32_e32 v28, s49
	v_add_co_u32_e32 v26, vcc, s48, v26
	v_addc_co_u32_e32 v27, vcc, v27, v28, vcc
	v_add_u32_e32 v23, 2, v23
	global_store_dword v[26:27], v33, off offset:-4
	global_store_dwordx2 v[24:25], v[31:32], off
	global_store_dword v[29:30], v36, off
	ds_write_b32 v36, v23
	s_or_b64 exec, exec, s[68:69]
                                        ; implicit-def: $vgpr29
.LBB17_121:                             ;   in Loop: Header=BB17_55 Depth=2
	s_andn2_saveexec_b64 s[6:7], s[66:67]
.LBB17_122:                             ;   in Loop: Header=BB17_55 Depth=2
	ds_write_b32 v36, v29
.LBB17_123:                             ;   in Loop: Header=BB17_55 Depth=2
	s_or_b64 exec, exec, s[6:7]
.LBB17_124:                             ;   in Loop: Header=BB17_55 Depth=2
	s_or_b64 exec, exec, s[64:65]
	s_waitcnt vmcnt(0) lgkmcnt(0)
	s_barrier
	ds_read_b64 v[23:24], v36
	s_waitcnt lgkmcnt(0)
	v_readfirstlane_b32 s6, v24
	v_cmp_eq_u32_e32 vcc, s6, v23
	v_mov_b32_e32 v23, s6
	s_cbranch_vccnz .LBB17_54
; %bb.125:                              ;   in Loop: Header=BB17_55 Depth=2
	s_and_saveexec_b64 s[8:9], s[2:3]
	s_cbranch_execz .LBB17_53
; %bb.126:                              ;   in Loop: Header=BB17_55 Depth=2
	ds_read_b32 v23, v36 offset:16
	v_mov_b32_e32 v27, v0
	s_waitcnt lgkmcnt(0)
	v_readfirstlane_b32 s7, v23
	s_mul_i32 s64, s7, s15
	s_ashr_i32 s65, s64, 31
	s_lshl_b64 s[66:67], s[64:65], 3
	s_add_u32 s41, s88, s66
	s_addc_u32 s68, s89, s67
	s_sub_i32 s69, s6, s7
	s_mul_hi_i32 s7, s69, s44
	s_mul_i32 s6, s69, s44
	s_lshl_b64 s[6:7], s[6:7], 3
	s_add_u32 s70, s41, s6
	s_addc_u32 s71, s68, s7
	v_ashrrev_i32_e32 v24, 31, v23
	s_cmp_gt_i32 s69, 0
	v_lshlrev_b64 v[23:24], 2, v[23:24]
	s_cselect_b64 s[64:65], -1, 0
	s_add_i32 s62, s69, -1
	s_lshl_b64 s[6:7], s[62:63], 2
	v_mov_b32_e32 v25, s7
	v_add_co_u32_e32 v23, vcc, s6, v23
	s_mul_i32 s6, s57, s62
	s_mul_hi_u32 s7, s56, s62
	v_addc_co_u32_e32 v24, vcc, v24, v25, vcc
	s_add_i32 s7, s7, s6
	s_mul_i32 s6, s56, s62
	v_mov_b32_e32 v25, s91
	v_add_co_u32_e32 v23, vcc, s90, v23
	s_add_u32 s6, s6, s66
	v_addc_co_u32_e32 v24, vcc, v25, v24, vcc
	s_addc_u32 s7, s7, s67
	v_mov_b32_e32 v26, s7
	v_add_co_u32_e32 v25, vcc, s6, v38
	v_addc_co_u32_e32 v26, vcc, v39, v26, vcc
	s_mov_b64 s[66:67], 0
	s_branch .LBB17_128
.LBB17_127:                             ;   in Loop: Header=BB17_128 Depth=3
	v_add_u32_e32 v27, s34, v27
	v_cmp_le_i32_e32 vcc, s10, v27
	s_waitcnt vmcnt(0)
	global_store_dwordx2 v[28:29], v[34:35], off
	v_mov_b32_e32 v28, s61
	s_or_b64 s[66:67], vcc, s[66:67]
	v_add_co_u32_e32 v25, vcc, s60, v25
	v_addc_co_u32_e32 v26, vcc, v26, v28, vcc
	s_andn2_b64 exec, exec, s[66:67]
	s_cbranch_execz .LBB17_53
.LBB17_128:                             ;   Parent Loop BB17_7 Depth=1
                                        ;     Parent Loop BB17_55 Depth=2
                                        ; =>    This Loop Header: Depth=3
                                        ;         Child Loop BB17_129 Depth 4
	v_ashrrev_i32_e32 v28, 31, v27
	v_lshlrev_b64 v[28:29], 3, v[27:28]
	v_mov_b32_e32 v31, s71
	v_add_co_u32_e32 v30, vcc, s70, v28
	v_addc_co_u32_e32 v31, vcc, v31, v29, vcc
	global_load_dwordx2 v[34:35], v[30:31], off
	v_mov_b32_e32 v30, s68
	v_add_co_u32_e32 v28, vcc, s41, v28
	v_addc_co_u32_e32 v29, vcc, v30, v29, vcc
	v_mov_b32_e32 v31, v26
	v_mov_b32_e32 v33, v24
	s_andn2_b64 vcc, exec, s[64:65]
	v_mov_b32_e32 v30, v25
	v_mov_b32_e32 v32, v23
	s_mov_b32 s6, s69
	s_cbranch_vccnz .LBB17_127
.LBB17_129:                             ;   Parent Loop BB17_7 Depth=1
                                        ;     Parent Loop BB17_55 Depth=2
                                        ;       Parent Loop BB17_128 Depth=3
                                        ; =>      This Inner Loop Header: Depth=4
	v_mov_b32_e32 v47, s58
	v_add_co_u32_e32 v46, vcc, s11, v32
	v_addc_co_u32_e32 v47, vcc, v33, v47, vcc
	global_load_dwordx2 v[44:45], v[30:31], off offset:-4
	global_load_dword v48, v[46:47], off
	global_load_dword v49, v[32:33], off
	s_mul_i32 s73, s6, s45
	s_mul_hi_u32 s74, s6, s44
	s_add_i32 s62, s6, -1
	s_waitcnt vmcnt(3)
	v_mov_b32_e32 v51, v34
	s_mul_i32 s72, s6, s44
	v_add_co_u32_e32 v32, vcc, -4, v32
	v_mov_b32_e32 v34, s59
	v_add_co_u32_e64 v30, s[6:7], s35, v30
	s_add_i32 s73, s74, s73
	v_addc_co_u32_e32 v33, vcc, -1, v33, vcc
	v_addc_co_u32_e64 v31, vcc, v31, v34, s[6:7]
	s_lshl_b64 s[72:73], s[72:73], 3
	v_mov_b32_e32 v34, s73
	v_add_co_u32_e32 v46, vcc, s72, v28
	v_mov_b32_e32 v50, v35
	v_addc_co_u32_e32 v47, vcc, v29, v34, vcc
	s_mov_b32 s6, s62
	s_cmp_eq_u32 s62, 0
	s_waitcnt vmcnt(0)
	v_mul_f32_e32 v34, v49, v44
	v_mul_f32_e32 v35, v49, v45
	;; [unrolled: 1-line block ×4, first 2 shown]
	v_fmac_f32_e32 v34, v51, v48
	v_fmac_f32_e32 v35, v50, v48
	v_fma_f32 v44, v51, v49, -v44
	v_fma_f32 v45, v50, v49, -v45
	global_store_dwordx2 v[46:47], v[44:45], off
	s_cbranch_scc0 .LBB17_129
	s_branch .LBB17_127
.LBB17_130:                             ;   in Loop: Header=BB17_55 Depth=2
	s_or_b64 exec, exec, s[68:69]
                                        ; implicit-def: $vgpr29
	s_andn2_saveexec_b64 s[6:7], s[66:67]
	s_cbranch_execnz .LBB17_122
	s_branch .LBB17_123
.LBB17_131:                             ;   in Loop: Header=BB17_133 Depth=2
	s_or_b64 exec, exec, s[4:5]
	s_waitcnt vmcnt(0)
	s_barrier
	ds_read_b32 v15, v36
.LBB17_132:                             ;   in Loop: Header=BB17_133 Depth=2
	ds_read2_b32 v[17:18], v36 offset0:5 offset1:7
	s_waitcnt lgkmcnt(0)
	v_cmp_ge_i32_e32 vcc, v15, v17
	v_cmp_gt_i32_e64 s[4:5], s28, v18
	s_and_b64 s[4:5], vcc, s[4:5]
	s_andn2_b64 vcc, exec, s[4:5]
	s_cbranch_vccnz .LBB17_210
.LBB17_133:                             ;   Parent Loop BB17_7 Depth=1
                                        ; =>  This Loop Header: Depth=2
                                        ;       Child Loop BB17_139 Depth 3
                                        ;       Child Loop BB17_159 Depth 3
	;; [unrolled: 1-line block ×3, first 2 shown]
                                        ;         Child Loop BB17_207 Depth 4
	s_and_saveexec_b64 s[8:9], s[0:1]
	s_cbranch_execz .LBB17_202
; %bb.134:                              ;   in Loop: Header=BB17_133 Depth=2
	v_cmp_gt_i32_e32 vcc, v15, v17
	s_mov_b64 s[4:5], 0
	s_cbranch_vccnz .LBB17_136
; %bb.135:                              ;   in Loop: Header=BB17_133 Depth=2
	v_ashrrev_i32_e32 v16, 31, v15
	v_mov_b32_e32 v21, v16
	s_mov_b64 s[6:7], -1
	v_mov_b32_e32 v20, v15
	v_mov_b32_e32 v19, v15
	s_cbranch_execz .LBB17_137
	s_branch .LBB17_142
.LBB17_136:                             ;   in Loop: Header=BB17_133 Depth=2
                                        ; implicit-def: $vgpr20_vgpr21
	s_mov_b64 s[6:7], 0
	v_mov_b32_e32 v19, v15
.LBB17_137:                             ;   in Loop: Header=BB17_133 Depth=2
	v_ashrrev_i32_e32 v16, 31, v15
	v_lshlrev_b64 v[7:8], 2, v[15:16]
	v_mov_b32_e32 v2, s33
	v_add_co_u32_e32 v1, vcc, s14, v7
	v_addc_co_u32_e32 v2, vcc, v2, v8, vcc
	v_mov_b32_e32 v19, s51
	v_add_co_u32_e32 v7, vcc, s50, v7
	v_addc_co_u32_e32 v8, vcc, v19, v8, vcc
	v_mov_b32_e32 v19, v15
	s_branch .LBB17_139
.LBB17_138:                             ;   in Loop: Header=BB17_139 Depth=3
	v_add_u32_e32 v19, -1, v42
	v_add_co_u32_e32 v7, vcc, -4, v7
	v_addc_co_u32_e32 v8, vcc, -1, v8, vcc
	s_mov_b64 s[6:7], 0
	v_cmp_le_i32_e64 s[4:5], v19, v17
	s_andn2_b64 vcc, exec, s[4:5]
	v_add_co_u32_e64 v1, s[4:5], -4, v1
	v_addc_co_u32_e64 v2, s[4:5], -1, v2, s[4:5]
	s_cbranch_vccz .LBB17_141
.LBB17_139:                             ;   Parent Loop BB17_7 Depth=1
                                        ;     Parent Loop BB17_133 Depth=2
                                        ; =>    This Inner Loop Header: Depth=3
	global_load_dword v22, v[1:2], off offset:-4
	global_load_dwordx2 v[20:21], v[7:8], off
	v_mov_b32_e32 v42, v19
	s_waitcnt vmcnt(1)
	v_mul_f32_e32 v19, v22, v22
	s_waitcnt vmcnt(0)
	v_mul_f32_e32 v20, v21, v20
	v_mul_f32_e64 v20, v37, |v20|
	v_cmp_le_f32_e64 s[4:5], |v19|, v20
	s_and_b64 vcc, exec, s[4:5]
	s_cbranch_vccz .LBB17_138
; %bb.140:                              ;   in Loop: Header=BB17_133 Depth=2
	s_mov_b64 s[6:7], -1
                                        ; implicit-def: $vgpr19
                                        ; implicit-def: $vgpr7_vgpr8
	v_add_co_u32_e64 v1, s[4:5], -4, v1
	v_addc_co_u32_e64 v2, s[4:5], -1, v2, s[4:5]
.LBB17_141:                             ;   in Loop: Header=BB17_133 Depth=2
	v_mov_b32_e32 v7, v15
	v_mov_b32_e32 v21, v16
	s_xor_b64 s[6:7], s[6:7], -1
	s_mov_b64 s[4:5], -1
	v_mov_b32_e32 v8, v16
	v_mov_b32_e32 v19, v17
	;; [unrolled: 1-line block ×3, first 2 shown]
.LBB17_142:                             ;   in Loop: Header=BB17_133 Depth=2
	s_and_b64 vcc, exec, s[6:7]
	s_cbranch_vccnz .LBB17_171
; %bb.143:                              ;   in Loop: Header=BB17_133 Depth=2
	s_andn2_b64 vcc, exec, s[4:5]
	s_cbranch_vccnz .LBB17_145
.LBB17_144:                             ;   in Loop: Header=BB17_133 Depth=2
	v_mov_b32_e32 v21, v8
	v_mov_b32_e32 v20, v7
	;; [unrolled: 1-line block ×3, first 2 shown]
	ds_write2_b32 v36, v42, v15 offset0:1 offset1:4
	global_store_dword v[1:2], v36, off
.LBB17_145:                             ;   in Loop: Header=BB17_133 Depth=2
	v_lshlrev_b64 v[21:22], 2, v[20:21]
	v_mov_b32_e32 v17, s23
	v_add_co_u32_e32 v16, vcc, s22, v21
	v_addc_co_u32_e32 v17, vcc, v17, v22, vcc
	global_load_dword v27, v[16:17], off
	v_cmp_ne_u32_e32 vcc, v19, v15
	v_add_u32_e32 v20, -1, v15
	s_waitcnt vmcnt(0)
	ds_write_b32 v36, v27 offset:8
	s_and_saveexec_b64 s[4:5], vcc
	s_xor_b64 s[64:65], exec, s[4:5]
	s_cbranch_execz .LBB17_199
; %bb.146:                              ;   in Loop: Header=BB17_133 Depth=2
	v_cmp_ne_u32_e32 vcc, v19, v20
	s_and_saveexec_b64 s[4:5], vcc
	s_xor_b64 s[6:7], exec, s[4:5]
	s_cbranch_execz .LBB17_175
; %bb.147:                              ;   in Loop: Header=BB17_133 Depth=2
	v_mov_b32_e32 v23, s33
	v_add_co_u32_e32 v21, vcc, s14, v21
	v_addc_co_u32_e32 v22, vcc, v23, v22, vcc
	global_load_dword v20, v[16:17], off offset:-4
	global_load_dword v30, v[21:22], off offset:-4
	v_mov_b32_e32 v32, s23
	v_add_u32_e32 v18, 1, v18
	ds_write2_b32 v36, v36, v18 offset0:2 offset1:7
	s_waitcnt vmcnt(1)
	v_sub_f32_e32 v29, v20, v27
	s_waitcnt vmcnt(0)
	v_add_f32_e32 v31, v30, v30
	v_div_scale_f32 v23, s[4:5], v31, v31, v29
	v_div_scale_f32 v24, vcc, v29, v31, v29
	v_ashrrev_i32_e32 v20, 31, v19
	v_lshlrev_b64 v[25:26], 2, v[19:20]
	v_rcp_f32_e32 v28, v23
	v_fma_f32 v20, -v23, v28, 1.0
	v_fmac_f32_e32 v28, v20, v28
	v_mul_f32_e32 v20, v24, v28
	v_fma_f32 v33, -v23, v20, v24
	v_fmac_f32_e32 v20, v33, v28
	v_fma_f32 v23, -v23, v20, v24
	v_div_fmas_f32 v20, v23, v28, v20
	v_add_co_u32_e32 v23, vcc, s22, v25
	v_addc_co_u32_e32 v24, vcc, v32, v26, vcc
	global_load_dword v28, v[23:24], off
	v_div_fixup_f32 v20, v20, v31, v29
	v_fma_f32 v29, v20, v20, 1.0
	v_mul_f32_e32 v31, 0x4f800000, v29
	v_cmp_gt_f32_e32 vcc, s52, v29
	v_cndmask_b32_e32 v29, v29, v31, vcc
	v_sqrt_f32_e32 v31, v29
	v_add_u32_e32 v32, -1, v31
	v_add_u32_e32 v33, 1, v31
	v_fma_f32 v34, -v32, v31, v29
	v_fma_f32 v35, -v33, v31, v29
	v_cmp_ge_f32_e64 s[4:5], 0, v34
	v_cndmask_b32_e64 v31, v31, v32, s[4:5]
	v_cmp_lt_f32_e64 s[4:5], 0, v35
	v_cndmask_b32_e64 v31, v31, v33, s[4:5]
	v_mul_f32_e32 v32, 0x37800000, v31
	v_cndmask_b32_e32 v31, v31, v32, vcc
	v_cmp_class_f32_e32 vcc, v29, v40
	v_cndmask_b32_e32 v29, v31, v29, vcc
	v_cmp_nle_f32_e32 vcc, 0, v20
	v_cndmask_b32_e64 v29, |v29|, -|v29|, vcc
	v_add_f32_e32 v20, v20, v29
	v_div_scale_f32 v29, s[4:5], v20, v20, v30
	v_div_scale_f32 v31, vcc, v30, v20, v30
	v_rcp_f32_e32 v32, v29
	v_fma_f32 v33, -v29, v32, 1.0
	v_fmac_f32_e32 v32, v33, v32
	v_mul_f32_e32 v33, v31, v32
	v_fma_f32 v34, -v29, v33, v31
	v_fmac_f32_e32 v33, v34, v32
	v_fma_f32 v29, -v29, v33, v31
	v_div_fmas_f32 v31, v29, v32, v33
	v_mov_b32_e32 v29, 0
	v_cmp_lt_i32_e32 vcc, v19, v15
	v_div_fixup_f32 v20, v31, v20, v30
	s_waitcnt vmcnt(0)
	v_sub_f32_e32 v18, v28, v27
	v_add_f32_e32 v18, v18, v20
	s_and_saveexec_b64 s[66:67], vcc
	s_cbranch_execz .LBB17_174
; %bb.148:                              ;   in Loop: Header=BB17_133 Depth=2
	v_mov_b32_e32 v20, s33
	v_add_co_u32_e32 v29, vcc, s14, v25
	v_addc_co_u32_e32 v30, vcc, v20, v26, vcc
	global_load_dword v30, v[29:30], off
	v_mov_b32_e32 v32, 0
	v_mov_b32_e32 v20, 1.0
	s_waitcnt vmcnt(0)
	v_cmp_neq_f32_e32 vcc, 0, v30
	s_and_saveexec_b64 s[68:69], vcc
	s_cbranch_execz .LBB17_156
; %bb.149:                              ;   in Loop: Header=BB17_133 Depth=2
	v_mov_b32_e32 v20, 0
	v_cmp_neq_f32_e32 vcc, 0, v18
	v_mov_b32_e32 v32, 1.0
	s_and_saveexec_b64 s[70:71], vcc
	s_cbranch_execz .LBB17_155
; %bb.150:                              ;   in Loop: Header=BB17_133 Depth=2
	v_cmp_ngt_f32_e64 s[4:5], |v30|, |v18|
                                        ; implicit-def: $vgpr32
                                        ; implicit-def: $vgpr20
	s_and_saveexec_b64 s[72:73], s[4:5]
	s_xor_b64 s[72:73], exec, s[72:73]
	s_cbranch_execz .LBB17_152
; %bb.151:                              ;   in Loop: Header=BB17_133 Depth=2
	v_div_scale_f32 v20, s[4:5], v18, v18, -v30
	v_div_scale_f32 v27, vcc, -v30, v18, -v30
	v_rcp_f32_e32 v29, v20
	v_fma_f32 v31, -v20, v29, 1.0
	v_fmac_f32_e32 v29, v31, v29
	v_mul_f32_e32 v31, v27, v29
	v_fma_f32 v32, -v20, v31, v27
	v_fmac_f32_e32 v31, v32, v29
	v_fma_f32 v20, -v20, v31, v27
	v_div_fmas_f32 v20, v20, v29, v31
	v_div_fixup_f32 v18, v20, v18, -v30
	v_fma_f32 v20, v18, v18, 1.0
	v_mul_f32_e32 v27, 0x4f800000, v20
	v_cmp_gt_f32_e32 vcc, s52, v20
	v_cndmask_b32_e32 v20, v20, v27, vcc
	v_sqrt_f32_e32 v27, v20
	v_add_u32_e32 v29, -1, v27
	v_add_u32_e32 v31, 1, v27
	v_fma_f32 v32, -v29, v27, v20
	v_fma_f32 v33, -v31, v27, v20
	v_cmp_ge_f32_e64 s[4:5], 0, v32
	v_cndmask_b32_e64 v27, v27, v29, s[4:5]
	v_cmp_lt_f32_e64 s[4:5], 0, v33
	v_cndmask_b32_e64 v27, v27, v31, s[4:5]
	v_mul_f32_e32 v29, 0x37800000, v27
	v_cndmask_b32_e32 v27, v27, v29, vcc
	v_cmp_class_f32_e32 vcc, v20, v40
	v_cndmask_b32_e32 v20, v27, v20, vcc
	v_div_scale_f32 v27, s[4:5], v20, v20, 1.0
	v_div_scale_f32 v29, vcc, 1.0, v20, 1.0
	v_rcp_f32_e32 v31, v27
	v_fma_f32 v32, -v27, v31, 1.0
	v_fmac_f32_e32 v31, v32, v31
	v_mul_f32_e32 v32, v29, v31
	v_fma_f32 v33, -v27, v32, v29
	v_fmac_f32_e32 v32, v33, v31
	v_fma_f32 v27, -v27, v32, v29
	v_div_fmas_f32 v27, v27, v31, v32
	v_div_fixup_f32 v20, v27, v20, 1.0
	v_mul_f32_e32 v32, v18, v20
                                        ; implicit-def: $vgpr18
.LBB17_152:                             ;   in Loop: Header=BB17_133 Depth=2
	s_andn2_saveexec_b64 s[72:73], s[72:73]
	s_cbranch_execz .LBB17_154
; %bb.153:                              ;   in Loop: Header=BB17_133 Depth=2
	v_div_scale_f32 v20, s[4:5], v30, v30, -v18
	v_div_scale_f32 v27, vcc, -v18, v30, -v18
	v_rcp_f32_e32 v29, v20
	v_fma_f32 v31, -v20, v29, 1.0
	v_fmac_f32_e32 v29, v31, v29
	v_mul_f32_e32 v31, v27, v29
	v_fma_f32 v32, -v20, v31, v27
	v_fmac_f32_e32 v31, v32, v29
	v_fma_f32 v20, -v20, v31, v27
	v_div_fmas_f32 v20, v20, v29, v31
	v_div_fixup_f32 v18, v20, v30, -v18
	v_fma_f32 v20, v18, v18, 1.0
	v_mul_f32_e32 v27, 0x4f800000, v20
	v_cmp_gt_f32_e32 vcc, s52, v20
	v_cndmask_b32_e32 v20, v20, v27, vcc
	v_sqrt_f32_e32 v27, v20
	v_add_u32_e32 v29, -1, v27
	v_add_u32_e32 v31, 1, v27
	v_fma_f32 v32, -v29, v27, v20
	v_fma_f32 v33, -v31, v27, v20
	v_cmp_ge_f32_e64 s[4:5], 0, v32
	v_cndmask_b32_e64 v27, v27, v29, s[4:5]
	v_cmp_lt_f32_e64 s[4:5], 0, v33
	v_cndmask_b32_e64 v27, v27, v31, s[4:5]
	v_mul_f32_e32 v29, 0x37800000, v27
	v_cndmask_b32_e32 v27, v27, v29, vcc
	v_cmp_class_f32_e32 vcc, v20, v40
	v_cndmask_b32_e32 v20, v27, v20, vcc
	v_div_scale_f32 v27, s[4:5], v20, v20, 1.0
	v_div_scale_f32 v29, vcc, 1.0, v20, 1.0
	v_rcp_f32_e32 v31, v27
	v_fma_f32 v32, -v27, v31, 1.0
	v_fmac_f32_e32 v31, v32, v31
	v_mul_f32_e32 v32, v29, v31
	v_fma_f32 v33, -v27, v32, v29
	v_fmac_f32_e32 v32, v33, v31
	v_fma_f32 v27, -v27, v32, v29
	v_div_fmas_f32 v27, v27, v31, v32
	v_div_fixup_f32 v32, v27, v20, 1.0
	v_mul_f32_e32 v20, v18, v32
.LBB17_154:                             ;   in Loop: Header=BB17_133 Depth=2
	s_or_b64 exec, exec, s[72:73]
.LBB17_155:                             ;   in Loop: Header=BB17_133 Depth=2
	s_or_b64 exec, exec, s[70:71]
.LBB17_156:                             ;   in Loop: Header=BB17_133 Depth=2
	s_or_b64 exec, exec, s[68:69]
	global_load_dword v18, v[23:24], off offset:4
	v_mov_b32_e32 v33, s91
	v_add_co_u32_e32 v25, vcc, s90, v25
	v_addc_co_u32_e32 v26, vcc, v33, v26, vcc
	v_add_f32_e32 v29, v20, v20
	v_mov_b32_e32 v34, s49
	v_add_co_u32_e32 v33, vcc, s48, v25
	v_add_u32_e32 v27, 1, v19
	v_addc_co_u32_e32 v34, vcc, v26, v34, vcc
	v_xor_b32_e32 v31, 0x80000000, v32
	v_cmp_lt_i32_e32 vcc, v27, v15
	s_waitcnt vmcnt(0)
	v_sub_f32_e32 v18, v18, v28
	v_mul_f32_e32 v18, v32, v18
	v_fma_f32 v18, v30, v29, -v18
	v_mul_f32_e64 v29, v18, -v32
	v_fma_f32 v28, v18, -v32, v28
	v_fma_f32 v18, v20, v18, -v30
	ds_write_b32 v36, v29 offset:8
	global_store_dword v[23:24], v28, off
	global_store_dword v[25:26], v20, off
	global_store_dword v[33:34], v31, off offset:-4
	s_and_saveexec_b64 s[68:69], vcc
	s_cbranch_execz .LBB17_173
; %bb.157:                              ;   in Loop: Header=BB17_133 Depth=2
	v_ashrrev_i32_e32 v28, 31, v27
	v_lshlrev_b64 v[27:28], 2, v[27:28]
	v_mov_b32_e32 v24, s91
	v_add_co_u32_e32 v23, vcc, s90, v27
	v_addc_co_u32_e32 v24, vcc, v24, v28, vcc
	v_mov_b32_e32 v26, s55
	v_add_co_u32_e32 v25, vcc, s54, v27
	v_addc_co_u32_e32 v26, vcc, v26, v28, vcc
	;; [unrolled: 3-line block ×3, first 2 shown]
	s_mov_b32 s41, 1
	s_mov_b64 s[70:71], 0
	s_branch .LBB17_159
.LBB17_158:                             ;   in Loop: Header=BB17_159 Depth=3
	global_load_dwordx2 v[34:35], v[27:28], off
	v_add_co_u32_e32 v25, vcc, 4, v25
	v_addc_co_u32_e32 v26, vcc, 0, v26, vcc
	v_add_co_u32_e32 v44, vcc, 4, v27
	v_addc_co_u32_e32 v45, vcc, 0, v28, vcc
	v_mul_f32_e32 v18, v20, v30
	v_mov_b32_e32 v30, s58
	s_add_i32 s41, s41, 1
	v_add_co_u32_e32 v46, vcc, s11, v23
	v_addc_co_u32_e32 v47, vcc, v24, v30, vcc
	v_add_u32_e32 v30, s41, v19
	v_cmp_ge_i32_e32 vcc, v30, v15
	v_add_f32_e32 v20, v32, v32
	v_xor_b32_e32 v31, 0x80000000, v33
	s_or_b64 s[70:71], vcc, s[70:71]
	s_waitcnt vmcnt(0)
	v_sub_f32_e32 v30, v34, v29
	v_sub_f32_e32 v29, v35, v30
	v_mul_f32_e32 v29, v33, v29
	v_fma_f32 v20, v18, v20, -v29
	v_fma_f32 v30, v20, -v33, v30
	global_store_dword v[27:28], v30, off
	global_store_dword v[23:24], v32, off
	;; [unrolled: 1-line block ×3, first 2 shown]
	v_add_co_u32_e32 v23, vcc, 4, v23
	v_mov_b32_e32 v27, v44
	v_mul_f32_e64 v29, v20, -v33
	v_fma_f32 v18, v32, v20, -v18
	v_addc_co_u32_e32 v24, vcc, 0, v24, vcc
	v_mov_b32_e32 v28, v45
	v_mov_b32_e32 v20, v32
	s_andn2_b64 exec, exec, s[70:71]
	s_cbranch_execz .LBB17_172
.LBB17_159:                             ;   Parent Loop BB17_7 Depth=1
                                        ;     Parent Loop BB17_133 Depth=2
                                        ; =>    This Inner Loop Header: Depth=3
	global_load_dword v30, v[25:26], off offset:4
	v_mov_b32_e32 v33, 0
	v_mov_b32_e32 v32, 1.0
	s_waitcnt vmcnt(0)
	v_mul_f32_e32 v31, v31, v30
	v_cmp_neq_f32_e32 vcc, 0, v31
	s_and_saveexec_b64 s[72:73], vcc
	s_cbranch_execz .LBB17_169
; %bb.160:                              ;   in Loop: Header=BB17_159 Depth=3
	v_cmp_neq_f32_e32 vcc, 0, v18
	v_xor_b32_e32 v34, 0x80000000, v31
                                        ; implicit-def: $vgpr33
                                        ; implicit-def: $vgpr32
	s_and_saveexec_b64 s[4:5], vcc
	s_xor_b64 s[74:75], exec, s[4:5]
	s_cbranch_execz .LBB17_166
; %bb.161:                              ;   in Loop: Header=BB17_159 Depth=3
	v_cmp_ngt_f32_e64 s[4:5], |v31|, |v18|
                                        ; implicit-def: $vgpr33
                                        ; implicit-def: $vgpr32
	s_and_saveexec_b64 s[76:77], s[4:5]
	s_xor_b64 s[76:77], exec, s[76:77]
	s_cbranch_execz .LBB17_163
; %bb.162:                              ;   in Loop: Header=BB17_159 Depth=3
	v_div_scale_f32 v32, s[4:5], v18, v18, -v31
	v_div_scale_f32 v33, vcc, -v31, v18, -v31
	v_rcp_f32_e32 v34, v32
	v_fma_f32 v35, -v32, v34, 1.0
	v_fmac_f32_e32 v34, v35, v34
	v_mul_f32_e32 v35, v33, v34
	v_fma_f32 v44, -v32, v35, v33
	v_fmac_f32_e32 v35, v44, v34
	v_fma_f32 v32, -v32, v35, v33
	v_div_fmas_f32 v32, v32, v34, v35
	v_div_fixup_f32 v33, v32, v18, -v31
	v_fma_f32 v32, v33, v33, 1.0
	v_mul_f32_e32 v34, 0x4f800000, v32
	v_cmp_gt_f32_e32 vcc, s52, v32
	v_cndmask_b32_e32 v32, v32, v34, vcc
	v_sqrt_f32_e32 v34, v32
	v_add_u32_e32 v35, -1, v34
	v_add_u32_e32 v44, 1, v34
	v_fma_f32 v45, -v35, v34, v32
	v_fma_f32 v46, -v44, v34, v32
	v_cmp_ge_f32_e64 s[4:5], 0, v45
	v_cndmask_b32_e64 v34, v34, v35, s[4:5]
	v_cmp_lt_f32_e64 s[4:5], 0, v46
	v_cndmask_b32_e64 v34, v34, v44, s[4:5]
	v_mul_f32_e32 v35, 0x37800000, v34
	v_cndmask_b32_e32 v34, v34, v35, vcc
	v_cmp_class_f32_e32 vcc, v32, v40
	v_cndmask_b32_e32 v32, v34, v32, vcc
	v_div_scale_f32 v34, s[4:5], v32, v32, 1.0
	v_div_scale_f32 v35, vcc, 1.0, v32, 1.0
	v_rcp_f32_e32 v44, v34
	v_fma_f32 v45, -v34, v44, 1.0
	v_fmac_f32_e32 v44, v45, v44
	v_mul_f32_e32 v45, v35, v44
	v_fma_f32 v46, -v34, v45, v35
	v_fmac_f32_e32 v45, v46, v44
	v_fma_f32 v34, -v34, v45, v35
	v_div_fmas_f32 v34, v34, v44, v45
	v_div_fixup_f32 v32, v34, v32, 1.0
	v_mul_f32_e32 v33, v33, v32
.LBB17_163:                             ;   in Loop: Header=BB17_159 Depth=3
	s_andn2_saveexec_b64 s[76:77], s[76:77]
	s_cbranch_execz .LBB17_165
; %bb.164:                              ;   in Loop: Header=BB17_159 Depth=3
	v_div_scale_f32 v32, s[4:5], v31, v31, -v18
	v_div_scale_f32 v33, vcc, -v18, v31, -v18
	v_rcp_f32_e32 v34, v32
	v_fma_f32 v35, -v32, v34, 1.0
	v_fmac_f32_e32 v34, v35, v34
	v_mul_f32_e32 v35, v33, v34
	v_fma_f32 v44, -v32, v35, v33
	v_fmac_f32_e32 v35, v44, v34
	v_fma_f32 v32, -v32, v35, v33
	v_div_fmas_f32 v32, v32, v34, v35
	v_div_fixup_f32 v32, v32, v31, -v18
	v_fma_f32 v33, v32, v32, 1.0
	v_mul_f32_e32 v34, 0x4f800000, v33
	v_cmp_gt_f32_e32 vcc, s52, v33
	v_cndmask_b32_e32 v33, v33, v34, vcc
	v_sqrt_f32_e32 v34, v33
	v_add_u32_e32 v35, -1, v34
	v_add_u32_e32 v44, 1, v34
	v_fma_f32 v45, -v35, v34, v33
	v_fma_f32 v46, -v44, v34, v33
	v_cmp_ge_f32_e64 s[4:5], 0, v45
	v_cndmask_b32_e64 v34, v34, v35, s[4:5]
	v_cmp_lt_f32_e64 s[4:5], 0, v46
	v_cndmask_b32_e64 v34, v34, v44, s[4:5]
	v_mul_f32_e32 v35, 0x37800000, v34
	v_cndmask_b32_e32 v34, v34, v35, vcc
	v_cmp_class_f32_e32 vcc, v33, v40
	v_cndmask_b32_e32 v33, v34, v33, vcc
	v_div_scale_f32 v34, s[4:5], v33, v33, 1.0
	v_div_scale_f32 v35, vcc, 1.0, v33, 1.0
	v_rcp_f32_e32 v44, v34
	v_fma_f32 v45, -v34, v44, 1.0
	v_fmac_f32_e32 v44, v45, v44
	v_mul_f32_e32 v45, v35, v44
	v_fma_f32 v46, -v34, v45, v35
	v_fmac_f32_e32 v45, v46, v44
	v_fma_f32 v34, -v34, v45, v35
	v_div_fmas_f32 v34, v34, v44, v45
	v_div_fixup_f32 v33, v34, v33, 1.0
	v_mul_f32_e32 v32, v32, v33
.LBB17_165:                             ;   in Loop: Header=BB17_159 Depth=3
	s_or_b64 exec, exec, s[76:77]
	v_mul_f32_e32 v31, v31, v33
	v_fma_f32 v34, v18, v32, -v31
.LBB17_166:                             ;   in Loop: Header=BB17_159 Depth=3
	s_andn2_saveexec_b64 s[4:5], s[74:75]
; %bb.167:                              ;   in Loop: Header=BB17_159 Depth=3
	v_mov_b32_e32 v32, 0
	v_mov_b32_e32 v33, 1.0
; %bb.168:                              ;   in Loop: Header=BB17_159 Depth=3
	s_or_b64 exec, exec, s[4:5]
	v_mov_b32_e32 v18, v34
.LBB17_169:                             ;   in Loop: Header=BB17_159 Depth=3
	s_or_b64 exec, exec, s[72:73]
	s_cmp_eq_u32 s41, 0
	s_cbranch_scc1 .LBB17_158
; %bb.170:                              ;   in Loop: Header=BB17_159 Depth=3
	global_store_dword v[25:26], v18, off
	s_branch .LBB17_158
.LBB17_171:                             ;   in Loop: Header=BB17_133 Depth=2
	ds_write2_b32 v36, v19, v15 offset0:1 offset1:4
	s_cbranch_execz .LBB17_144
	s_branch .LBB17_145
.LBB17_172:                             ;   in Loop: Header=BB17_133 Depth=2
	s_or_b64 exec, exec, s[70:71]
	ds_write_b32 v36, v29 offset:8
.LBB17_173:                             ;   in Loop: Header=BB17_133 Depth=2
	s_or_b64 exec, exec, s[68:69]
	global_load_dword v27, v[16:17], off
.LBB17_174:                             ;   in Loop: Header=BB17_133 Depth=2
	s_or_b64 exec, exec, s[66:67]
	s_waitcnt vmcnt(0)
	v_sub_f32_e32 v15, v27, v29
	global_store_dword v[16:17], v15, off
	global_store_dword v[21:22], v18, off offset:-4
                                        ; implicit-def: $vgpr16_vgpr17
                                        ; implicit-def: $vgpr21_vgpr22
                                        ; implicit-def: $vgpr15
                                        ; implicit-def: $vgpr27
                                        ; implicit-def: $vgpr19
.LBB17_175:                             ;   in Loop: Header=BB17_133 Depth=2
	s_andn2_saveexec_b64 s[66:67], s[6:7]
	s_cbranch_execz .LBB17_208
; %bb.176:                              ;   in Loop: Header=BB17_133 Depth=2
	v_ashrrev_i32_e32 v20, 31, v19
	v_lshlrev_b64 v[18:19], 2, v[19:20]
	v_mov_b32_e32 v20, s23
	v_add_co_u32_e32 v23, vcc, s22, v18
	v_addc_co_u32_e32 v24, vcc, v20, v19, vcc
	v_mov_b32_e32 v20, s33
	v_add_co_u32_e32 v25, vcc, s14, v18
	v_addc_co_u32_e32 v26, vcc, v20, v19, vcc
	global_load_dword v23, v[23:24], off
	s_nop 0
	global_load_dword v28, v[25:26], off
                                        ; implicit-def: $vgpr26
	s_waitcnt vmcnt(1)
	v_sub_f32_e32 v25, v23, v27
	s_waitcnt vmcnt(0)
	v_add_f32_e32 v20, v28, v28
	v_and_b32_e32 v24, 0x7fffffff, v20
	v_cmp_ngt_f32_e64 s[4:5], |v25|, |v20|
	s_and_saveexec_b64 s[6:7], s[4:5]
	s_xor_b64 s[6:7], exec, s[6:7]
	s_cbranch_execz .LBB17_182
; %bb.177:                              ;   in Loop: Header=BB17_133 Depth=2
	v_cmp_nlt_f32_e64 s[4:5], |v25|, |v20|
                                        ; implicit-def: $vgpr26
	s_and_saveexec_b64 s[68:69], s[4:5]
	s_xor_b64 s[4:5], exec, s[68:69]
	s_cbranch_execz .LBB17_179
; %bb.178:                              ;   in Loop: Header=BB17_133 Depth=2
	v_cvt_f64_f32_e32 v[29:30], v24
                                        ; implicit-def: $vgpr24
	v_mul_f64 v[29:30], v[29:30], s[80:81]
	v_cvt_f32_f64_e32 v26, v[29:30]
.LBB17_179:                             ;   in Loop: Header=BB17_133 Depth=2
	s_andn2_saveexec_b64 s[68:69], s[4:5]
	s_cbranch_execz .LBB17_181
; %bb.180:                              ;   in Loop: Header=BB17_133 Depth=2
	v_and_b32_e32 v26, 0x7fffffff, v25
	v_div_scale_f32 v29, s[4:5], v24, v24, v26
	v_div_scale_f32 v24, vcc, v26, v24, v26
	v_rcp_f32_e32 v26, v29
	v_fma_f32 v30, -v29, v26, 1.0
	v_fmac_f32_e32 v26, v30, v26
	v_mul_f32_e32 v30, v24, v26
	v_fma_f32 v31, -v29, v30, v24
	v_fmac_f32_e32 v30, v31, v26
	v_fma_f32 v24, -v29, v30, v24
	v_div_fmas_f32 v24, v24, v26, v30
	v_div_fixup_f32 v24, v24, |v20|, |v25|
	v_fma_f32 v24, v24, v24, 1.0
	v_mul_f32_e32 v26, 0x4f800000, v24
	v_cmp_gt_f32_e32 vcc, s52, v24
	v_cndmask_b32_e32 v24, v24, v26, vcc
	v_sqrt_f32_e32 v26, v24
	v_add_u32_e32 v29, -1, v26
	v_add_u32_e32 v30, 1, v26
	v_fma_f32 v31, -v29, v26, v24
	v_fma_f32 v32, -v30, v26, v24
	v_cmp_ge_f32_e64 s[4:5], 0, v31
	v_cndmask_b32_e64 v26, v26, v29, s[4:5]
	v_cmp_lt_f32_e64 s[4:5], 0, v32
	v_cndmask_b32_e64 v26, v26, v30, s[4:5]
	v_mul_f32_e32 v29, 0x37800000, v26
	v_cndmask_b32_e32 v26, v26, v29, vcc
	v_cmp_class_f32_e32 vcc, v24, v40
	v_cndmask_b32_e32 v24, v26, v24, vcc
	v_mul_f32_e64 v26, |v20|, v24
.LBB17_181:                             ;   in Loop: Header=BB17_133 Depth=2
	s_or_b64 exec, exec, s[68:69]
                                        ; implicit-def: $vgpr24
.LBB17_182:                             ;   in Loop: Header=BB17_133 Depth=2
	s_andn2_saveexec_b64 s[6:7], s[6:7]
	s_cbranch_execz .LBB17_184
; %bb.183:                              ;   in Loop: Header=BB17_133 Depth=2
	v_and_b32_e32 v26, 0x7fffffff, v25
	v_div_scale_f32 v29, s[4:5], v26, v26, v24
	v_div_scale_f32 v24, vcc, v24, v26, v24
	v_rcp_f32_e32 v26, v29
	v_fma_f32 v30, -v29, v26, 1.0
	v_fmac_f32_e32 v26, v30, v26
	v_mul_f32_e32 v30, v24, v26
	v_fma_f32 v31, -v29, v30, v24
	v_fmac_f32_e32 v30, v31, v26
	v_fma_f32 v24, -v29, v30, v24
	v_div_fmas_f32 v24, v24, v26, v30
	v_div_fixup_f32 v24, v24, |v25|, |v20|
	v_fma_f32 v24, v24, v24, 1.0
	v_mul_f32_e32 v26, 0x4f800000, v24
	v_cmp_gt_f32_e32 vcc, s52, v24
	v_cndmask_b32_e32 v24, v24, v26, vcc
	v_sqrt_f32_e32 v26, v24
	v_add_u32_e32 v29, -1, v26
	v_add_u32_e32 v30, 1, v26
	v_fma_f32 v31, -v29, v26, v24
	v_fma_f32 v32, -v30, v26, v24
	v_cmp_ge_f32_e64 s[4:5], 0, v31
	v_cndmask_b32_e64 v26, v26, v29, s[4:5]
	v_cmp_lt_f32_e64 s[4:5], 0, v32
	v_cndmask_b32_e64 v26, v26, v30, s[4:5]
	v_mul_f32_e32 v29, 0x37800000, v26
	v_cndmask_b32_e32 v26, v26, v29, vcc
	v_cmp_class_f32_e32 vcc, v24, v40
	v_cndmask_b32_e32 v24, v26, v24, vcc
	v_mul_f32_e64 v26, |v25|, v24
.LBB17_184:                             ;   in Loop: Header=BB17_133 Depth=2
	s_or_b64 exec, exec, s[6:7]
	v_add_f32_e32 v30, v27, v23
	v_cmp_gt_f32_e64 vcc, |v23|, |v27|
	v_cndmask_b32_e32 v29, v23, v27, vcc
	v_cndmask_b32_e32 v31, v27, v23, vcc
	v_cmp_ngt_f32_e32 vcc, 0, v30
                                        ; implicit-def: $vgpr24
	s_and_saveexec_b64 s[4:5], vcc
	s_xor_b64 s[6:7], exec, s[4:5]
	s_cbranch_execz .LBB17_190
; %bb.185:                              ;   in Loop: Header=BB17_133 Depth=2
	v_cmp_nlt_f32_e32 vcc, 0, v30
                                        ; implicit-def: $vgpr24
	s_and_saveexec_b64 s[4:5], vcc
	s_xor_b64 s[4:5], exec, s[4:5]
; %bb.186:                              ;   in Loop: Header=BB17_133 Depth=2
	v_mul_f32_e32 v23, 0.5, v26
	v_mul_f32_e32 v24, -0.5, v26
                                        ; implicit-def: $vgpr30
                                        ; implicit-def: $vgpr31
                                        ; implicit-def: $vgpr29
                                        ; implicit-def: $vgpr28
; %bb.187:                              ;   in Loop: Header=BB17_133 Depth=2
	s_andn2_saveexec_b64 s[68:69], s[4:5]
	s_cbranch_execz .LBB17_189
; %bb.188:                              ;   in Loop: Header=BB17_133 Depth=2
	v_add_f32_e32 v23, v30, v26
	v_mul_f32_e32 v23, 0.5, v23
	v_cvt_f64_f32_e32 v[30:31], v31
	v_cvt_f64_f32_e32 v[32:33], v23
	;; [unrolled: 1-line block ×3, first 2 shown]
	v_div_scale_f64 v[34:35], s[4:5], v[32:33], v[32:33], v[30:31]
	v_div_scale_f64 v[44:45], s[4:5], v[32:33], v[32:33], v[27:28]
	;; [unrolled: 1-line block ×3, first 2 shown]
	v_rcp_f64_e32 v[46:47], v[34:35]
	v_rcp_f64_e32 v[48:49], v[44:45]
	v_fma_f64 v[50:51], -v[34:35], v[46:47], 1.0
	v_fma_f64 v[52:53], -v[44:45], v[48:49], 1.0
	v_fma_f64 v[46:47], v[46:47], v[50:51], v[46:47]
	v_div_scale_f64 v[50:51], vcc, v[30:31], v[32:33], v[30:31]
	v_fma_f64 v[48:49], v[48:49], v[52:53], v[48:49]
	v_fma_f64 v[52:53], -v[34:35], v[46:47], 1.0
	v_fma_f64 v[56:57], -v[44:45], v[48:49], 1.0
	v_fma_f64 v[46:47], v[46:47], v[52:53], v[46:47]
	v_fma_f64 v[48:49], v[48:49], v[56:57], v[48:49]
	v_mul_f64 v[52:53], v[50:51], v[46:47]
	v_mul_f64 v[56:57], v[54:55], v[48:49]
	v_fma_f64 v[34:35], -v[34:35], v[52:53], v[50:51]
	v_fma_f64 v[44:45], -v[44:45], v[56:57], v[54:55]
	v_div_fmas_f64 v[34:35], v[34:35], v[46:47], v[52:53]
	s_mov_b64 vcc, s[4:5]
	v_div_fmas_f64 v[44:45], v[44:45], v[48:49], v[56:57]
	v_div_fixup_f64 v[30:31], v[34:35], v[32:33], v[30:31]
	v_div_fixup_f64 v[44:45], v[44:45], v[32:33], v[27:28]
	v_cvt_f64_f32_e32 v[32:33], v29
	v_mul_f64 v[27:28], v[44:45], v[27:28]
	v_fma_f64 v[27:28], v[30:31], v[32:33], -v[27:28]
	v_cvt_f32_f64_e32 v24, v[27:28]
.LBB17_189:                             ;   in Loop: Header=BB17_133 Depth=2
	s_or_b64 exec, exec, s[68:69]
                                        ; implicit-def: $vgpr30
                                        ; implicit-def: $vgpr31
                                        ; implicit-def: $vgpr29
                                        ; implicit-def: $vgpr28
.LBB17_190:                             ;   in Loop: Header=BB17_133 Depth=2
	s_or_saveexec_b64 s[6:7], s[6:7]
	v_mov_b32_e32 v27, 1
	s_xor_b64 exec, exec, s[6:7]
	s_cbranch_execz .LBB17_192
; %bb.191:                              ;   in Loop: Header=BB17_133 Depth=2
	v_sub_f32_e32 v23, v30, v26
	v_mul_f32_e32 v23, 0.5, v23
	v_cvt_f64_f32_e32 v[30:31], v31
	v_cvt_f64_f32_e32 v[32:33], v23
	;; [unrolled: 1-line block ×3, first 2 shown]
	v_div_scale_f64 v[34:35], s[4:5], v[32:33], v[32:33], v[30:31]
	v_div_scale_f64 v[44:45], s[4:5], v[32:33], v[32:33], v[27:28]
	;; [unrolled: 1-line block ×3, first 2 shown]
	v_rcp_f64_e32 v[46:47], v[34:35]
	v_rcp_f64_e32 v[48:49], v[44:45]
	v_fma_f64 v[50:51], -v[34:35], v[46:47], 1.0
	v_fma_f64 v[52:53], -v[44:45], v[48:49], 1.0
	v_fma_f64 v[46:47], v[46:47], v[50:51], v[46:47]
	v_div_scale_f64 v[50:51], vcc, v[30:31], v[32:33], v[30:31]
	v_fma_f64 v[48:49], v[48:49], v[52:53], v[48:49]
	v_fma_f64 v[52:53], -v[34:35], v[46:47], 1.0
	v_fma_f64 v[56:57], -v[44:45], v[48:49], 1.0
	v_fma_f64 v[46:47], v[46:47], v[52:53], v[46:47]
	v_fma_f64 v[48:49], v[48:49], v[56:57], v[48:49]
	v_mul_f64 v[52:53], v[50:51], v[46:47]
	v_mul_f64 v[56:57], v[54:55], v[48:49]
	v_fma_f64 v[34:35], -v[34:35], v[52:53], v[50:51]
	v_fma_f64 v[44:45], -v[44:45], v[56:57], v[54:55]
	v_div_fmas_f64 v[34:35], v[34:35], v[46:47], v[52:53]
	s_mov_b64 vcc, s[4:5]
	v_div_fmas_f64 v[44:45], v[44:45], v[48:49], v[56:57]
	v_div_fixup_f64 v[30:31], v[34:35], v[32:33], v[30:31]
	v_div_fixup_f64 v[44:45], v[44:45], v[32:33], v[27:28]
	v_cvt_f64_f32_e32 v[32:33], v29
	v_mul_f64 v[27:28], v[44:45], v[27:28]
	v_fma_f64 v[27:28], v[30:31], v[32:33], -v[27:28]
	v_cvt_f32_f64_e32 v24, v[27:28]
	v_mov_b32_e32 v27, -1
.LBB17_192:                             ;   in Loop: Header=BB17_133 Depth=2
	s_or_b64 exec, exec, s[6:7]
	v_cmp_nle_f32_e64 s[4:5], 0, v25
	v_cndmask_b32_e64 v26, v26, -v26, s[4:5]
	v_add_f32_e32 v25, v25, v26
	v_cmp_ngt_f32_e64 s[6:7], |v25|, |v20|
                                        ; implicit-def: $vgpr26
                                        ; implicit-def: $vgpr28
	s_and_saveexec_b64 s[68:69], s[6:7]
	s_xor_b64 s[68:69], exec, s[68:69]
	s_cbranch_execz .LBB17_196
; %bb.193:                              ;   in Loop: Header=BB17_133 Depth=2
	v_mov_b32_e32 v26, 0
	v_cmp_neq_f32_e32 vcc, 0, v20
	v_mov_b32_e32 v28, 1.0
	s_and_saveexec_b64 s[70:71], vcc
	s_cbranch_execz .LBB17_195
; %bb.194:                              ;   in Loop: Header=BB17_133 Depth=2
	v_div_scale_f32 v26, s[6:7], v20, v20, -v25
	v_div_scale_f32 v28, vcc, -v25, v20, -v25
	v_rcp_f32_e32 v29, v26
	v_fma_f32 v30, -v26, v29, 1.0
	v_fmac_f32_e32 v29, v30, v29
	v_mul_f32_e32 v30, v28, v29
	v_fma_f32 v31, -v26, v30, v28
	v_fmac_f32_e32 v30, v31, v29
	v_fma_f32 v26, -v26, v30, v28
	v_div_fmas_f32 v26, v26, v29, v30
	v_div_fixup_f32 v20, v26, v20, -v25
	v_fma_f32 v25, v20, v20, 1.0
	v_mul_f32_e32 v26, 0x4f800000, v25
	v_cmp_gt_f32_e32 vcc, s52, v25
	v_cndmask_b32_e32 v25, v25, v26, vcc
	v_sqrt_f32_e32 v26, v25
	v_add_u32_e32 v28, -1, v26
	v_add_u32_e32 v29, 1, v26
	v_fma_f32 v30, -v28, v26, v25
	v_fma_f32 v31, -v29, v26, v25
	v_cmp_ge_f32_e64 s[6:7], 0, v30
	v_cndmask_b32_e64 v26, v26, v28, s[6:7]
	v_cmp_lt_f32_e64 s[6:7], 0, v31
	v_cndmask_b32_e64 v26, v26, v29, s[6:7]
	v_mul_f32_e32 v28, 0x37800000, v26
	v_cndmask_b32_e32 v26, v26, v28, vcc
	v_cmp_class_f32_e32 vcc, v25, v40
	v_cndmask_b32_e32 v25, v26, v25, vcc
	v_div_scale_f32 v26, s[6:7], v25, v25, 1.0
	v_div_scale_f32 v28, vcc, 1.0, v25, 1.0
	v_rcp_f32_e32 v29, v26
	v_fma_f32 v30, -v26, v29, 1.0
	v_fmac_f32_e32 v29, v30, v29
	v_mul_f32_e32 v30, v28, v29
	v_fma_f32 v31, -v26, v30, v28
	v_fmac_f32_e32 v30, v31, v29
	v_fma_f32 v26, -v26, v30, v28
	v_div_fmas_f32 v26, v26, v29, v30
	v_div_fixup_f32 v28, v26, v25, 1.0
	v_mul_f32_e32 v26, v20, v28
.LBB17_195:                             ;   in Loop: Header=BB17_133 Depth=2
	s_or_b64 exec, exec, s[70:71]
                                        ; implicit-def: $vgpr25
                                        ; implicit-def: $vgpr20
.LBB17_196:                             ;   in Loop: Header=BB17_133 Depth=2
	s_andn2_saveexec_b64 s[68:69], s[68:69]
	s_cbranch_execz .LBB17_198
; %bb.197:                              ;   in Loop: Header=BB17_133 Depth=2
	v_div_scale_f32 v26, s[6:7], v25, v25, -v20
	v_div_scale_f32 v28, vcc, -v20, v25, -v20
	v_rcp_f32_e32 v29, v26
	v_fma_f32 v30, -v26, v29, 1.0
	v_fmac_f32_e32 v29, v30, v29
	v_mul_f32_e32 v30, v28, v29
	v_fma_f32 v31, -v26, v30, v28
	v_fmac_f32_e32 v30, v31, v29
	v_fma_f32 v26, -v26, v30, v28
	v_div_fmas_f32 v26, v26, v29, v30
	v_div_fixup_f32 v20, v26, v25, -v20
	v_fma_f32 v25, v20, v20, 1.0
	v_mul_f32_e32 v26, 0x4f800000, v25
	v_cmp_gt_f32_e32 vcc, s52, v25
	v_cndmask_b32_e32 v25, v25, v26, vcc
	v_sqrt_f32_e32 v26, v25
	v_add_u32_e32 v28, -1, v26
	v_add_u32_e32 v29, 1, v26
	v_fma_f32 v30, -v28, v26, v25
	v_fma_f32 v31, -v29, v26, v25
	v_cmp_ge_f32_e64 s[6:7], 0, v30
	v_cndmask_b32_e64 v26, v26, v28, s[6:7]
	v_cmp_lt_f32_e64 s[6:7], 0, v31
	v_cndmask_b32_e64 v26, v26, v29, s[6:7]
	v_mul_f32_e32 v28, 0x37800000, v26
	v_cndmask_b32_e32 v26, v26, v28, vcc
	v_cmp_class_f32_e32 vcc, v25, v40
	v_cndmask_b32_e32 v25, v26, v25, vcc
	v_div_scale_f32 v26, s[6:7], v25, v25, 1.0
	v_div_scale_f32 v28, vcc, 1.0, v25, 1.0
	v_rcp_f32_e32 v29, v26
	v_fma_f32 v30, -v26, v29, 1.0
	v_fmac_f32_e32 v29, v30, v29
	v_mul_f32_e32 v30, v28, v29
	v_fma_f32 v31, -v26, v30, v28
	v_fmac_f32_e32 v30, v31, v29
	v_fma_f32 v26, -v26, v30, v28
	v_div_fmas_f32 v26, v26, v29, v30
	v_div_fixup_f32 v26, v26, v25, 1.0
	v_mul_f32_e32 v28, v20, v26
.LBB17_198:                             ;   in Loop: Header=BB17_133 Depth=2
	s_or_b64 exec, exec, s[68:69]
	v_cndmask_b32_e64 v20, 1, -1, s[4:5]
	v_cmp_eq_u32_e32 vcc, v27, v20
	v_cndmask_b32_e64 v20, v28, -v26, vcc
	v_cndmask_b32_e32 v25, v26, v28, vcc
	v_mov_b32_e32 v26, s91
	v_add_co_u32_e32 v18, vcc, s90, v18
	v_addc_co_u32_e32 v19, vcc, v26, v19, vcc
	global_store_dword v[18:19], v20, off
	v_mov_b32_e32 v20, s49
	v_add_co_u32_e32 v18, vcc, s48, v18
	v_addc_co_u32_e32 v19, vcc, v19, v20, vcc
	global_store_dword v[18:19], v25, off offset:-4
	global_store_dwordx2 v[16:17], v[23:24], off offset:-4
	v_mov_b32_e32 v17, s33
	v_add_co_u32_e32 v16, vcc, s14, v21
	v_addc_co_u32_e32 v17, vcc, v17, v22, vcc
	v_add_u32_e32 v15, -2, v15
	global_store_dword v[16:17], v36, off offset:-4
	ds_write_b32 v36, v15
	s_or_b64 exec, exec, s[66:67]
                                        ; implicit-def: $vgpr20
.LBB17_199:                             ;   in Loop: Header=BB17_133 Depth=2
	s_andn2_saveexec_b64 s[4:5], s[64:65]
.LBB17_200:                             ;   in Loop: Header=BB17_133 Depth=2
	ds_write_b32 v36, v20
.LBB17_201:                             ;   in Loop: Header=BB17_133 Depth=2
	s_or_b64 exec, exec, s[4:5]
.LBB17_202:                             ;   in Loop: Header=BB17_133 Depth=2
	s_or_b64 exec, exec, s[8:9]
	s_waitcnt vmcnt(0) lgkmcnt(0)
	s_barrier
	ds_read_b64 v[15:16], v36
	s_waitcnt lgkmcnt(0)
	v_readfirstlane_b32 s6, v16
	v_cmp_eq_u32_e32 vcc, s6, v15
	v_mov_b32_e32 v15, s6
	s_cbranch_vccnz .LBB17_132
; %bb.203:                              ;   in Loop: Header=BB17_133 Depth=2
	s_and_saveexec_b64 s[4:5], s[2:3]
	s_cbranch_execz .LBB17_131
; %bb.204:                              ;   in Loop: Header=BB17_133 Depth=2
	ds_read_b32 v15, v36 offset:16
	s_ashr_i32 s7, s6, 31
	s_lshl_b64 s[64:65], s[6:7], 2
	s_mul_i32 s8, s6, s15
	v_mov_b32_e32 v17, v0
	s_waitcnt lgkmcnt(0)
	v_readfirstlane_b32 s7, v15
	s_sub_i32 s41, s7, s6
	s_add_u32 s6, s90, s64
	s_addc_u32 s7, s91, s65
	s_ashr_i32 s9, s8, 31
	s_lshl_b64 s[64:65], s[8:9], 3
	s_add_u32 s62, s88, s64
	s_addc_u32 s68, s89, s65
	s_cmp_gt_i32 s41, 0
	s_mul_hi_i32 s67, s41, s44
	s_mul_i32 s66, s41, s44
	s_cselect_b64 s[8:9], -1, 0
	s_lshl_b64 s[66:67], s[66:67], 3
	s_add_u32 s69, s62, s66
	v_mov_b32_e32 v16, s65
	v_add_co_u32_e32 v15, vcc, s64, v38
	s_addc_u32 s70, s68, s67
	v_addc_co_u32_e32 v16, vcc, v39, v16, vcc
	s_mov_b64 s[64:65], 0
	s_branch .LBB17_206
.LBB17_205:                             ;   in Loop: Header=BB17_206 Depth=3
	v_mov_b32_e32 v22, s70
	v_add_co_u32_e32 v18, vcc, s69, v18
	v_addc_co_u32_e32 v19, vcc, v22, v19, vcc
	v_add_u32_e32 v17, s34, v17
	v_cmp_le_i32_e32 vcc, s10, v17
	s_waitcnt vmcnt(0)
	global_store_dwordx2 v[18:19], v[20:21], off
	v_mov_b32_e32 v18, s61
	s_or_b64 s[64:65], vcc, s[64:65]
	v_add_co_u32_e32 v15, vcc, s60, v15
	v_addc_co_u32_e32 v16, vcc, v16, v18, vcc
	s_andn2_b64 exec, exec, s[64:65]
	s_cbranch_execz .LBB17_131
.LBB17_206:                             ;   Parent Loop BB17_7 Depth=1
                                        ;     Parent Loop BB17_133 Depth=2
                                        ; =>    This Loop Header: Depth=3
                                        ;         Child Loop BB17_207 Depth 4
	v_ashrrev_i32_e32 v18, 31, v17
	v_lshlrev_b64 v[18:19], 3, v[17:18]
	v_mov_b32_e32 v21, s68
	v_add_co_u32_e32 v20, vcc, s62, v18
	v_addc_co_u32_e32 v21, vcc, v21, v19, vcc
	global_load_dwordx2 v[20:21], v[20:21], off
	v_mov_b32_e32 v23, v16
	s_andn2_b64 vcc, exec, s[8:9]
	s_mov_b64 s[66:67], s[6:7]
	v_mov_b32_e32 v22, v15
	s_mov_b32 s71, s41
	s_cbranch_vccnz .LBB17_205
.LBB17_207:                             ;   Parent Loop BB17_7 Depth=1
                                        ;     Parent Loop BB17_133 Depth=2
                                        ;       Parent Loop BB17_206 Depth=3
                                        ; =>      This Inner Loop Header: Depth=4
	v_mov_b32_e32 v25, s57
	v_add_co_u32_e32 v24, vcc, s56, v22
	s_add_u32 s72, s66, s11
	v_addc_co_u32_e32 v25, vcc, v23, v25, vcc
	s_addc_u32 s73, s67, s58
	global_load_dwordx2 v[26:27], v[24:25], off offset:-4
	global_load_dword v30, v36, s[72:73]
	global_load_dword v31, v36, s[66:67]
	s_add_i32 s71, s71, -1
	s_add_u32 s66, s66, 4
	s_addc_u32 s67, s67, 0
	s_cmp_eq_u32 s71, 0
	s_waitcnt vmcnt(1)
	v_mul_f32_e32 v28, v30, v26
	v_mul_f32_e32 v29, v30, v27
	s_waitcnt vmcnt(0)
	v_fmac_f32_e32 v28, v20, v31
	v_fmac_f32_e32 v29, v21, v31
	v_mul_f32_e32 v32, v20, v30
	v_mul_f32_e32 v30, v21, v30
	global_store_dwordx2 v[22:23], v[28:29], off offset:-4
	v_mov_b32_e32 v22, v24
	v_fma_f32 v20, v31, v26, -v32
	v_fma_f32 v21, v31, v27, -v30
	v_mov_b32_e32 v23, v25
	s_cbranch_scc0 .LBB17_207
	s_branch .LBB17_205
.LBB17_208:                             ;   in Loop: Header=BB17_133 Depth=2
	s_or_b64 exec, exec, s[66:67]
                                        ; implicit-def: $vgpr20
	s_andn2_saveexec_b64 s[4:5], s[64:65]
	s_cbranch_execnz .LBB17_200
	s_branch .LBB17_201
.LBB17_209:                             ;   in Loop: Header=BB17_7 Depth=1
	v_mov_b32_e32 v3, v19
	v_mov_b32_e32 v5, v21
	;; [unrolled: 1-line block ×5, first 2 shown]
.LBB17_210:                             ;   in Loop: Header=BB17_7 Depth=1
	s_barrier
	ds_read_b32 v20, v36 offset:24
	s_waitcnt lgkmcnt(0)
	v_cmp_nlt_f32_e32 vcc, s31, v20
	s_cbranch_vccnz .LBB17_217
; %bb.211:                              ;   in Loop: Header=BB17_7 Depth=1
	v_div_scale_f32 v15, s[4:5], v20, v20, s31
	v_div_scale_f32 v16, vcc, s31, v20, s31
	v_rcp_f32_e32 v17, v15
	v_fma_f32 v18, -v15, v17, 1.0
	v_fmac_f32_e32 v17, v18, v17
	v_mul_f32_e32 v18, v16, v17
	v_fma_f32 v19, -v15, v18, v16
	v_fmac_f32_e32 v18, v19, v17
	v_fma_f32 v15, -v15, v18, v16
	v_div_fmas_f32 v17, v15, v17, v18
	ds_read2_b32 v[15:16], v36 offset0:4 offset1:8
	v_div_fixup_f32 v21, v17, v20, s31
	s_and_saveexec_b64 s[4:5], s[0:1]
	s_cbranch_execz .LBB17_213
; %bb.212:                              ;   in Loop: Header=BB17_7 Depth=1
	s_waitcnt lgkmcnt(0)
	v_ashrrev_i32_e32 v18, 31, v16
	v_mov_b32_e32 v17, v16
	v_lshlrev_b64 v[17:18], 2, v[17:18]
	v_mov_b32_e32 v19, s23
	v_add_co_u32_e32 v17, vcc, s22, v17
	v_addc_co_u32_e32 v18, vcc, v19, v18, vcc
	global_load_dword v19, v[17:18], off
	s_waitcnt vmcnt(0)
	v_mul_f32_e32 v19, v21, v19
	global_store_dword v[17:18], v19, off
.LBB17_213:                             ;   in Loop: Header=BB17_7 Depth=1
	s_or_b64 exec, exec, s[4:5]
	s_waitcnt lgkmcnt(0)
	v_add_u32_e32 v17, v15, v0
	v_cmp_lt_i32_e32 vcc, v17, v16
	s_and_saveexec_b64 s[4:5], vcc
	s_cbranch_execz .LBB17_216
; %bb.214:                              ;   in Loop: Header=BB17_7 Depth=1
	v_ashrrev_i32_e32 v18, 31, v17
	v_lshlrev_b64 v[18:19], 2, v[17:18]
	s_mov_b64 s[6:7], 0
.LBB17_215:                             ;   Parent Loop BB17_7 Depth=1
                                        ; =>  This Inner Loop Header: Depth=2
	v_mov_b32_e32 v15, s23
	v_add_co_u32_e32 v22, vcc, s22, v18
	v_addc_co_u32_e32 v23, vcc, v15, v19, vcc
	global_load_dword v15, v[22:23], off
	v_mov_b32_e32 v25, s33
	v_add_co_u32_e32 v24, vcc, s14, v18
	v_addc_co_u32_e32 v25, vcc, v25, v19, vcc
	v_add_co_u32_e32 v18, vcc, s46, v18
	v_add_u32_e32 v17, s34, v17
	s_waitcnt vmcnt(0)
	v_mul_f32_e32 v15, v21, v15
	global_store_dword v[22:23], v15, off
	global_load_dword v15, v[24:25], off
	v_mov_b32_e32 v22, s47
	v_addc_co_u32_e32 v19, vcc, v19, v22, vcc
	v_cmp_ge_i32_e32 vcc, v17, v16
	s_or_b64 s[6:7], vcc, s[6:7]
	s_waitcnt vmcnt(0)
	v_mul_f32_e32 v15, v21, v15
	global_store_dword v[24:25], v15, off
	s_andn2_b64 exec, exec, s[6:7]
	s_cbranch_execnz .LBB17_215
.LBB17_216:                             ;   in Loop: Header=BB17_7 Depth=1
	s_or_b64 exec, exec, s[4:5]
.LBB17_217:                             ;   in Loop: Header=BB17_7 Depth=1
	v_cmp_ngt_f32_e32 vcc, s30, v20
	s_cbranch_vccnz .LBB17_5
; %bb.218:                              ;   in Loop: Header=BB17_7 Depth=1
	v_div_scale_f32 v15, s[4:5], v20, v20, s30
	v_div_scale_f32 v16, vcc, s30, v20, s30
	v_rcp_f32_e32 v17, v15
	v_fma_f32 v18, -v15, v17, 1.0
	v_fmac_f32_e32 v17, v18, v17
	v_mul_f32_e32 v18, v16, v17
	v_fma_f32 v19, -v15, v18, v16
	v_fmac_f32_e32 v18, v19, v17
	v_fma_f32 v15, -v15, v18, v16
	v_div_fmas_f32 v17, v15, v17, v18
	ds_read2_b32 v[15:16], v36 offset0:4 offset1:8
	v_div_fixup_f32 v20, v17, v20, s30
	s_and_saveexec_b64 s[4:5], s[0:1]
	s_cbranch_execz .LBB17_220
; %bb.219:                              ;   in Loop: Header=BB17_7 Depth=1
	s_waitcnt lgkmcnt(0)
	v_ashrrev_i32_e32 v18, 31, v16
	v_mov_b32_e32 v17, v16
	v_lshlrev_b64 v[17:18], 2, v[17:18]
	v_mov_b32_e32 v19, s23
	v_add_co_u32_e32 v17, vcc, s22, v17
	v_addc_co_u32_e32 v18, vcc, v19, v18, vcc
	global_load_dword v19, v[17:18], off
	s_waitcnt vmcnt(0)
	v_mul_f32_e32 v19, v20, v19
	global_store_dword v[17:18], v19, off
.LBB17_220:                             ;   in Loop: Header=BB17_7 Depth=1
	s_or_b64 exec, exec, s[4:5]
	s_waitcnt lgkmcnt(0)
	v_add_u32_e32 v17, v15, v0
	v_cmp_lt_i32_e32 vcc, v17, v16
	s_and_saveexec_b64 s[4:5], vcc
	s_cbranch_execz .LBB17_4
; %bb.221:                              ;   in Loop: Header=BB17_7 Depth=1
	v_ashrrev_i32_e32 v18, 31, v17
	v_lshlrev_b64 v[18:19], 2, v[17:18]
	s_mov_b64 s[6:7], 0
.LBB17_222:                             ;   Parent Loop BB17_7 Depth=1
                                        ; =>  This Inner Loop Header: Depth=2
	v_mov_b32_e32 v15, s23
	v_add_co_u32_e32 v21, vcc, s22, v18
	v_addc_co_u32_e32 v22, vcc, v15, v19, vcc
	global_load_dword v15, v[21:22], off
	v_mov_b32_e32 v24, s33
	v_add_co_u32_e32 v23, vcc, s14, v18
	v_addc_co_u32_e32 v24, vcc, v24, v19, vcc
	v_add_co_u32_e32 v18, vcc, s46, v18
	v_add_u32_e32 v17, s34, v17
	s_waitcnt vmcnt(0)
	v_mul_f32_e32 v15, v20, v15
	global_store_dword v[21:22], v15, off
	global_load_dword v15, v[23:24], off
	v_mov_b32_e32 v21, s47
	v_addc_co_u32_e32 v19, vcc, v19, v21, vcc
	v_cmp_ge_i32_e32 vcc, v17, v16
	s_or_b64 s[6:7], vcc, s[6:7]
	s_waitcnt vmcnt(0)
	v_mul_f32_e32 v15, v20, v15
	global_store_dword v[23:24], v15, off
	s_andn2_b64 exec, exec, s[6:7]
	s_cbranch_execnz .LBB17_222
	s_branch .LBB17_4
.LBB17_223:
	v_cmp_gt_i32_e32 vcc, s40, v0
	s_and_saveexec_b64 s[2:3], vcc
	s_cbranch_execz .LBB17_229
; %bb.224:
	s_lshl_b64 s[4:5], s[38:39], 2
	s_add_u32 s4, s18, s4
	s_addc_u32 s5, s19, s5
	s_lshl_b64 s[6:7], s[42:43], 2
	v_ashrrev_i32_e32 v1, 31, v0
	v_lshlrev_b64 v[1:2], 2, v[0:1]
	s_add_u32 s6, s24, s6
	s_addc_u32 s7, s25, s7
	s_ashr_i32 s35, s34, 31
	v_mov_b32_e32 v3, s7
	v_add_co_u32_e32 v1, vcc, s6, v1
	s_lshl_b64 s[6:7], s[34:35], 2
	v_addc_co_u32_e32 v2, vcc, v3, v2, vcc
	s_mov_b64 s[8:9], 0
	v_mov_b32_e32 v3, 0
	v_mov_b32_e32 v4, s7
	s_branch .LBB17_226
.LBB17_225:                             ;   in Loop: Header=BB17_226 Depth=1
	s_or_b64 exec, exec, s[18:19]
	v_add_u32_e32 v0, s34, v0
	v_cmp_le_i32_e32 vcc, s40, v0
	s_or_b64 s[8:9], vcc, s[8:9]
	v_add_co_u32_e32 v1, vcc, s6, v1
	v_addc_co_u32_e32 v2, vcc, v2, v4, vcc
	s_andn2_b64 exec, exec, s[8:9]
	s_cbranch_execz .LBB17_229
.LBB17_226:                             ; =>This Inner Loop Header: Depth=1
	global_load_dword v5, v[1:2], off
	s_waitcnt vmcnt(0)
	v_cmp_neq_f32_e32 vcc, 0, v5
	s_and_saveexec_b64 s[18:19], vcc
	s_cbranch_execz .LBB17_225
; %bb.227:                              ;   in Loop: Header=BB17_226 Depth=1
	s_mov_b64 s[24:25], exec
	v_mbcnt_lo_u32_b32 v5, s24, 0
	v_mbcnt_hi_u32_b32 v5, s25, v5
	v_cmp_eq_u32_e32 vcc, 0, v5
	s_and_b64 s[28:29], exec, vcc
	s_mov_b64 exec, s[28:29]
	s_cbranch_execz .LBB17_225
; %bb.228:                              ;   in Loop: Header=BB17_226 Depth=1
	s_bcnt1_i32_b64 s7, s[24:25]
	v_mov_b32_e32 v5, s7
	global_atomic_add v3, v5, s[4:5]
	s_branch .LBB17_225
.LBB17_229:
	s_or_b64 exec, exec, s[2:3]
	s_cmp_lt_i32 s10, 2
	s_cbranch_scc1 .LBB17_242
; %bb.230:
	s_add_u32 s2, s20, s36
	s_addc_u32 s3, s21, s37
	s_add_u32 s2, s2, 4
	s_addc_u32 s3, s3, 0
	s_lshl_b64 s[4:5], s[16:17], 3
	s_lshl_b64 s[6:7], s[26:27], 3
	s_add_u32 s4, s4, s6
	s_addc_u32 s5, s5, s7
	s_add_u32 s11, s12, s4
	s_addc_u32 s14, s13, s5
	s_mov_b32 s4, 1
	v_mov_b32_e32 v0, 0
	s_branch .LBB17_232
.LBB17_231:                             ;   in Loop: Header=BB17_232 Depth=1
	s_add_i32 s4, s4, 1
	s_add_u32 s2, s2, 4
	s_addc_u32 s3, s3, 0
	s_cmp_lg_u32 s4, s10
	s_waitcnt vmcnt(0)
	s_barrier
	s_cbranch_scc0 .LBB17_242
.LBB17_232:                             ; =>This Loop Header: Depth=1
                                        ;     Child Loop BB17_235 Depth 2
                                        ;     Child Loop BB17_241 Depth 2
	s_and_saveexec_b64 s[6:7], s[0:1]
	s_cbranch_execz .LBB17_239
; %bb.233:                              ;   in Loop: Header=BB17_232 Depth=1
	s_ashr_i32 s5, s4, 31
	s_add_i32 s13, s4, -1
	s_lshl_b64 s[8:9], s[4:5], 2
	s_add_u32 s8, s22, s8
	s_addc_u32 s9, s23, s9
	global_load_dword v1, v0, s[8:9] offset:-4
	v_mov_b32_e32 v2, s13
	v_mov_b32_e32 v3, s13
	s_mov_b64 s[16:17], s[2:3]
	s_mov_b32 s5, s4
	s_mov_b32 s12, s13
	ds_write_b64 v0, v[2:3]
	s_waitcnt vmcnt(0)
	ds_write_b32 v0, v1 offset:8
	v_mov_b32_e32 v2, v1
	s_branch .LBB17_235
.LBB17_234:                             ;   in Loop: Header=BB17_235 Depth=2
	s_add_i32 s5, s5, 1
	s_add_u32 s16, s16, 4
	s_addc_u32 s17, s17, 0
	s_cmp_eq_u32 s10, s5
	s_cbranch_scc1 .LBB17_237
.LBB17_235:                             ;   Parent Loop BB17_232 Depth=1
                                        ; =>  This Inner Loop Header: Depth=2
	global_load_dword v3, v0, s[16:17]
	s_waitcnt vmcnt(0)
	v_cmp_nlt_f32_e32 vcc, v3, v2
	s_cbranch_vccnz .LBB17_234
; %bb.236:                              ;   in Loop: Header=BB17_235 Depth=2
	v_mov_b32_e32 v2, s5
	ds_write2_b32 v0, v2, v3 offset0:1 offset1:2
	s_mov_b32 s12, s5
	v_mov_b32_e32 v2, v3
	s_branch .LBB17_234
.LBB17_237:                             ;   in Loop: Header=BB17_232 Depth=1
	s_cmp_lg_u32 s12, s13
	s_cbranch_scc0 .LBB17_239
; %bb.238:                              ;   in Loop: Header=BB17_232 Depth=1
	s_ashr_i32 s13, s12, 31
	s_lshl_b64 s[12:13], s[12:13], 2
	s_add_u32 s12, s22, s12
	s_addc_u32 s13, s23, s13
	global_store_dword v0, v1, s[12:13]
	global_store_dword v0, v2, s[8:9] offset:-4
.LBB17_239:                             ;   in Loop: Header=BB17_232 Depth=1
	s_or_b64 exec, exec, s[6:7]
	s_waitcnt vmcnt(0) lgkmcnt(0)
	s_barrier
	ds_read_b64 v[1:2], v0
	s_waitcnt lgkmcnt(0)
	v_readfirstlane_b32 s5, v1
	v_readfirstlane_b32 s6, v2
	s_cmp_eq_u32 s6, s5
	s_cbranch_scc1 .LBB17_231
; %bb.240:                              ;   in Loop: Header=BB17_232 Depth=1
	s_mul_i32 s6, s6, s15
	s_ashr_i32 s7, s6, 31
	s_lshl_b64 s[6:7], s[6:7], 3
	s_mul_i32 s8, s5, s15
	s_add_u32 s6, s11, s6
	s_addc_u32 s7, s14, s7
	s_ashr_i32 s9, s8, 31
	s_lshl_b64 s[8:9], s[8:9], 3
	s_add_u32 s8, s11, s8
	s_addc_u32 s9, s14, s9
	s_mov_b32 s5, s10
.LBB17_241:                             ;   Parent Loop BB17_232 Depth=1
                                        ; =>  This Inner Loop Header: Depth=2
	global_load_dwordx2 v[1:2], v0, s[6:7]
	global_load_dwordx2 v[3:4], v0, s[8:9]
	s_add_i32 s5, s5, -1
	s_waitcnt vmcnt(1)
	global_store_dwordx2 v0, v[1:2], s[8:9]
	s_waitcnt vmcnt(1)
	global_store_dwordx2 v0, v[3:4], s[6:7]
	s_add_u32 s6, s6, 8
	s_addc_u32 s7, s7, 0
	s_add_u32 s8, s8, 8
	s_addc_u32 s9, s9, 0
	s_cmp_lg_u32 s5, 0
	s_cbranch_scc1 .LBB17_241
	s_branch .LBB17_231
.LBB17_242:
	s_endpgm
	.section	.rodata,"a",@progbits
	.p2align	6, 0x0
	.amdhsa_kernel _ZN9rocsolver6v33100L12steqr_kernelI19rocblas_complex_numIfEfPS3_EEviPT0_lS6_lT1_iilPiS6_iS5_S5_S5_
		.amdhsa_group_segment_fixed_size 36
		.amdhsa_private_segment_fixed_size 0
		.amdhsa_kernarg_size 352
		.amdhsa_user_sgpr_count 6
		.amdhsa_user_sgpr_private_segment_buffer 1
		.amdhsa_user_sgpr_dispatch_ptr 0
		.amdhsa_user_sgpr_queue_ptr 0
		.amdhsa_user_sgpr_kernarg_segment_ptr 1
		.amdhsa_user_sgpr_dispatch_id 0
		.amdhsa_user_sgpr_flat_scratch_init 0
		.amdhsa_user_sgpr_private_segment_size 0
		.amdhsa_uses_dynamic_stack 0
		.amdhsa_system_sgpr_private_segment_wavefront_offset 0
		.amdhsa_system_sgpr_workgroup_id_x 1
		.amdhsa_system_sgpr_workgroup_id_y 1
		.amdhsa_system_sgpr_workgroup_id_z 0
		.amdhsa_system_sgpr_workgroup_info 0
		.amdhsa_system_vgpr_workitem_id 0
		.amdhsa_next_free_vgpr 61
		.amdhsa_next_free_sgpr 96
		.amdhsa_reserve_vcc 1
		.amdhsa_reserve_flat_scratch 0
		.amdhsa_float_round_mode_32 0
		.amdhsa_float_round_mode_16_64 0
		.amdhsa_float_denorm_mode_32 3
		.amdhsa_float_denorm_mode_16_64 3
		.amdhsa_dx10_clamp 1
		.amdhsa_ieee_mode 1
		.amdhsa_fp16_overflow 0
		.amdhsa_exception_fp_ieee_invalid_op 0
		.amdhsa_exception_fp_denorm_src 0
		.amdhsa_exception_fp_ieee_div_zero 0
		.amdhsa_exception_fp_ieee_overflow 0
		.amdhsa_exception_fp_ieee_underflow 0
		.amdhsa_exception_fp_ieee_inexact 0
		.amdhsa_exception_int_div_zero 0
	.end_amdhsa_kernel
	.section	.text._ZN9rocsolver6v33100L12steqr_kernelI19rocblas_complex_numIfEfPS3_EEviPT0_lS6_lT1_iilPiS6_iS5_S5_S5_,"axG",@progbits,_ZN9rocsolver6v33100L12steqr_kernelI19rocblas_complex_numIfEfPS3_EEviPT0_lS6_lT1_iilPiS6_iS5_S5_S5_,comdat
.Lfunc_end17:
	.size	_ZN9rocsolver6v33100L12steqr_kernelI19rocblas_complex_numIfEfPS3_EEviPT0_lS6_lT1_iilPiS6_iS5_S5_S5_, .Lfunc_end17-_ZN9rocsolver6v33100L12steqr_kernelI19rocblas_complex_numIfEfPS3_EEviPT0_lS6_lT1_iilPiS6_iS5_S5_S5_
                                        ; -- End function
	.set _ZN9rocsolver6v33100L12steqr_kernelI19rocblas_complex_numIfEfPS3_EEviPT0_lS6_lT1_iilPiS6_iS5_S5_S5_.num_vgpr, 61
	.set _ZN9rocsolver6v33100L12steqr_kernelI19rocblas_complex_numIfEfPS3_EEviPT0_lS6_lT1_iilPiS6_iS5_S5_S5_.num_agpr, 0
	.set _ZN9rocsolver6v33100L12steqr_kernelI19rocblas_complex_numIfEfPS3_EEviPT0_lS6_lT1_iilPiS6_iS5_S5_S5_.numbered_sgpr, 96
	.set _ZN9rocsolver6v33100L12steqr_kernelI19rocblas_complex_numIfEfPS3_EEviPT0_lS6_lT1_iilPiS6_iS5_S5_S5_.num_named_barrier, 0
	.set _ZN9rocsolver6v33100L12steqr_kernelI19rocblas_complex_numIfEfPS3_EEviPT0_lS6_lT1_iilPiS6_iS5_S5_S5_.private_seg_size, 0
	.set _ZN9rocsolver6v33100L12steqr_kernelI19rocblas_complex_numIfEfPS3_EEviPT0_lS6_lT1_iilPiS6_iS5_S5_S5_.uses_vcc, 1
	.set _ZN9rocsolver6v33100L12steqr_kernelI19rocblas_complex_numIfEfPS3_EEviPT0_lS6_lT1_iilPiS6_iS5_S5_S5_.uses_flat_scratch, 0
	.set _ZN9rocsolver6v33100L12steqr_kernelI19rocblas_complex_numIfEfPS3_EEviPT0_lS6_lT1_iilPiS6_iS5_S5_S5_.has_dyn_sized_stack, 0
	.set _ZN9rocsolver6v33100L12steqr_kernelI19rocblas_complex_numIfEfPS3_EEviPT0_lS6_lT1_iilPiS6_iS5_S5_S5_.has_recursion, 0
	.set _ZN9rocsolver6v33100L12steqr_kernelI19rocblas_complex_numIfEfPS3_EEviPT0_lS6_lT1_iilPiS6_iS5_S5_S5_.has_indirect_call, 0
	.section	.AMDGPU.csdata,"",@progbits
; Kernel info:
; codeLenInByte = 13100
; TotalNumSgprs: 100
; NumVgprs: 61
; ScratchSize: 0
; MemoryBound: 0
; FloatMode: 240
; IeeeMode: 1
; LDSByteSize: 36 bytes/workgroup (compile time only)
; SGPRBlocks: 12
; VGPRBlocks: 15
; NumSGPRsForWavesPerEU: 100
; NumVGPRsForWavesPerEU: 61
; Occupancy: 4
; WaveLimiterHint : 0
; COMPUTE_PGM_RSRC2:SCRATCH_EN: 0
; COMPUTE_PGM_RSRC2:USER_SGPR: 6
; COMPUTE_PGM_RSRC2:TRAP_HANDLER: 0
; COMPUTE_PGM_RSRC2:TGID_X_EN: 1
; COMPUTE_PGM_RSRC2:TGID_Y_EN: 1
; COMPUTE_PGM_RSRC2:TGID_Z_EN: 0
; COMPUTE_PGM_RSRC2:TIDIG_COMP_CNT: 0
	.section	.text._ZN9rocsolver6v33100L16reset_batch_infoI19rocblas_complex_numIdEiiPS3_EEvT2_lT0_T1_,"axG",@progbits,_ZN9rocsolver6v33100L16reset_batch_infoI19rocblas_complex_numIdEiiPS3_EEvT2_lT0_T1_,comdat
	.globl	_ZN9rocsolver6v33100L16reset_batch_infoI19rocblas_complex_numIdEiiPS3_EEvT2_lT0_T1_ ; -- Begin function _ZN9rocsolver6v33100L16reset_batch_infoI19rocblas_complex_numIdEiiPS3_EEvT2_lT0_T1_
	.p2align	8
	.type	_ZN9rocsolver6v33100L16reset_batch_infoI19rocblas_complex_numIdEiiPS3_EEvT2_lT0_T1_,@function
_ZN9rocsolver6v33100L16reset_batch_infoI19rocblas_complex_numIdEiiPS3_EEvT2_lT0_T1_: ; @_ZN9rocsolver6v33100L16reset_batch_infoI19rocblas_complex_numIdEiiPS3_EEvT2_lT0_T1_
; %bb.0:
	s_load_dword s2, s[4:5], 0x24
	s_load_dwordx2 s[0:1], s[4:5], 0x10
	s_waitcnt lgkmcnt(0)
	s_and_b32 s2, s2, 0xffff
	s_mul_i32 s6, s6, s2
	v_add_u32_e32 v0, s6, v0
	v_cmp_gt_i32_e32 vcc, s0, v0
	s_and_saveexec_b64 s[2:3], vcc
	s_cbranch_execz .LBB18_2
; %bb.1:
	s_load_dwordx4 s[8:11], s[4:5], 0x0
	s_ashr_i32 s0, s7, 31
	v_ashrrev_i32_e32 v1, 31, v0
	v_lshlrev_b64 v[2:3], 4, v[0:1]
	v_cvt_f64_i32_e32 v[0:1], s1
	s_waitcnt lgkmcnt(0)
	s_mul_hi_u32 s3, s10, s7
	s_mul_i32 s0, s10, s0
	s_mul_i32 s4, s11, s7
	s_add_i32 s0, s3, s0
	s_mul_i32 s2, s10, s7
	s_add_i32 s3, s0, s4
	s_lshl_b64 s[2:3], s[2:3], 4
	s_add_u32 s0, s8, s2
	s_addc_u32 s2, s9, s3
	v_mov_b32_e32 v5, s2
	v_add_co_u32_e32 v4, vcc, s0, v2
	v_mov_b32_e32 v2, 0
	v_addc_co_u32_e32 v5, vcc, v5, v3, vcc
	v_mov_b32_e32 v3, v2
	global_store_dwordx4 v[4:5], v[0:3], off
.LBB18_2:
	s_endpgm
	.section	.rodata,"a",@progbits
	.p2align	6, 0x0
	.amdhsa_kernel _ZN9rocsolver6v33100L16reset_batch_infoI19rocblas_complex_numIdEiiPS3_EEvT2_lT0_T1_
		.amdhsa_group_segment_fixed_size 0
		.amdhsa_private_segment_fixed_size 0
		.amdhsa_kernarg_size 280
		.amdhsa_user_sgpr_count 6
		.amdhsa_user_sgpr_private_segment_buffer 1
		.amdhsa_user_sgpr_dispatch_ptr 0
		.amdhsa_user_sgpr_queue_ptr 0
		.amdhsa_user_sgpr_kernarg_segment_ptr 1
		.amdhsa_user_sgpr_dispatch_id 0
		.amdhsa_user_sgpr_flat_scratch_init 0
		.amdhsa_user_sgpr_private_segment_size 0
		.amdhsa_uses_dynamic_stack 0
		.amdhsa_system_sgpr_private_segment_wavefront_offset 0
		.amdhsa_system_sgpr_workgroup_id_x 1
		.amdhsa_system_sgpr_workgroup_id_y 1
		.amdhsa_system_sgpr_workgroup_id_z 0
		.amdhsa_system_sgpr_workgroup_info 0
		.amdhsa_system_vgpr_workitem_id 0
		.amdhsa_next_free_vgpr 6
		.amdhsa_next_free_sgpr 12
		.amdhsa_reserve_vcc 1
		.amdhsa_reserve_flat_scratch 0
		.amdhsa_float_round_mode_32 0
		.amdhsa_float_round_mode_16_64 0
		.amdhsa_float_denorm_mode_32 3
		.amdhsa_float_denorm_mode_16_64 3
		.amdhsa_dx10_clamp 1
		.amdhsa_ieee_mode 1
		.amdhsa_fp16_overflow 0
		.amdhsa_exception_fp_ieee_invalid_op 0
		.amdhsa_exception_fp_denorm_src 0
		.amdhsa_exception_fp_ieee_div_zero 0
		.amdhsa_exception_fp_ieee_overflow 0
		.amdhsa_exception_fp_ieee_underflow 0
		.amdhsa_exception_fp_ieee_inexact 0
		.amdhsa_exception_int_div_zero 0
	.end_amdhsa_kernel
	.section	.text._ZN9rocsolver6v33100L16reset_batch_infoI19rocblas_complex_numIdEiiPS3_EEvT2_lT0_T1_,"axG",@progbits,_ZN9rocsolver6v33100L16reset_batch_infoI19rocblas_complex_numIdEiiPS3_EEvT2_lT0_T1_,comdat
.Lfunc_end18:
	.size	_ZN9rocsolver6v33100L16reset_batch_infoI19rocblas_complex_numIdEiiPS3_EEvT2_lT0_T1_, .Lfunc_end18-_ZN9rocsolver6v33100L16reset_batch_infoI19rocblas_complex_numIdEiiPS3_EEvT2_lT0_T1_
                                        ; -- End function
	.set _ZN9rocsolver6v33100L16reset_batch_infoI19rocblas_complex_numIdEiiPS3_EEvT2_lT0_T1_.num_vgpr, 6
	.set _ZN9rocsolver6v33100L16reset_batch_infoI19rocblas_complex_numIdEiiPS3_EEvT2_lT0_T1_.num_agpr, 0
	.set _ZN9rocsolver6v33100L16reset_batch_infoI19rocblas_complex_numIdEiiPS3_EEvT2_lT0_T1_.numbered_sgpr, 12
	.set _ZN9rocsolver6v33100L16reset_batch_infoI19rocblas_complex_numIdEiiPS3_EEvT2_lT0_T1_.num_named_barrier, 0
	.set _ZN9rocsolver6v33100L16reset_batch_infoI19rocblas_complex_numIdEiiPS3_EEvT2_lT0_T1_.private_seg_size, 0
	.set _ZN9rocsolver6v33100L16reset_batch_infoI19rocblas_complex_numIdEiiPS3_EEvT2_lT0_T1_.uses_vcc, 1
	.set _ZN9rocsolver6v33100L16reset_batch_infoI19rocblas_complex_numIdEiiPS3_EEvT2_lT0_T1_.uses_flat_scratch, 0
	.set _ZN9rocsolver6v33100L16reset_batch_infoI19rocblas_complex_numIdEiiPS3_EEvT2_lT0_T1_.has_dyn_sized_stack, 0
	.set _ZN9rocsolver6v33100L16reset_batch_infoI19rocblas_complex_numIdEiiPS3_EEvT2_lT0_T1_.has_recursion, 0
	.set _ZN9rocsolver6v33100L16reset_batch_infoI19rocblas_complex_numIdEiiPS3_EEvT2_lT0_T1_.has_indirect_call, 0
	.section	.AMDGPU.csdata,"",@progbits
; Kernel info:
; codeLenInByte = 148
; TotalNumSgprs: 16
; NumVgprs: 6
; ScratchSize: 0
; MemoryBound: 0
; FloatMode: 240
; IeeeMode: 1
; LDSByteSize: 0 bytes/workgroup (compile time only)
; SGPRBlocks: 1
; VGPRBlocks: 1
; NumSGPRsForWavesPerEU: 16
; NumVGPRsForWavesPerEU: 6
; Occupancy: 10
; WaveLimiterHint : 0
; COMPUTE_PGM_RSRC2:SCRATCH_EN: 0
; COMPUTE_PGM_RSRC2:USER_SGPR: 6
; COMPUTE_PGM_RSRC2:TRAP_HANDLER: 0
; COMPUTE_PGM_RSRC2:TGID_X_EN: 1
; COMPUTE_PGM_RSRC2:TGID_Y_EN: 1
; COMPUTE_PGM_RSRC2:TGID_Z_EN: 0
; COMPUTE_PGM_RSRC2:TIDIG_COMP_CNT: 0
	.section	.text._ZN9rocsolver6v33100L10init_identI19rocblas_complex_numIdEPS3_EEviiT0_iil,"axG",@progbits,_ZN9rocsolver6v33100L10init_identI19rocblas_complex_numIdEPS3_EEviiT0_iil,comdat
	.globl	_ZN9rocsolver6v33100L10init_identI19rocblas_complex_numIdEPS3_EEviiT0_iil ; -- Begin function _ZN9rocsolver6v33100L10init_identI19rocblas_complex_numIdEPS3_EEviiT0_iil
	.p2align	8
	.type	_ZN9rocsolver6v33100L10init_identI19rocblas_complex_numIdEPS3_EEviiT0_iil,@function
_ZN9rocsolver6v33100L10init_identI19rocblas_complex_numIdEPS3_EEviiT0_iil: ; @_ZN9rocsolver6v33100L10init_identI19rocblas_complex_numIdEPS3_EEviiT0_iil
; %bb.0:
	s_load_dword s2, s[4:5], 0x2c
	s_load_dwordx2 s[0:1], s[4:5], 0x0
	s_waitcnt lgkmcnt(0)
	s_lshr_b32 s3, s2, 16
	s_and_b32 s2, s2, 0xffff
	s_mul_i32 s6, s6, s2
	s_mul_i32 s7, s7, s3
	v_add_u32_e32 v3, s6, v0
	v_add_u32_e32 v0, s7, v1
	v_cmp_gt_u32_e32 vcc, s0, v3
	v_cmp_gt_u32_e64 s[0:1], s1, v0
	s_and_b64 s[0:1], vcc, s[0:1]
	s_and_saveexec_b64 s[2:3], s[0:1]
	s_cbranch_execz .LBB19_6
; %bb.1:
	s_load_dwordx2 s[0:1], s[4:5], 0x10
	v_cmp_ne_u32_e32 vcc, v3, v0
                                        ; implicit-def: $vgpr2
	s_and_saveexec_b64 s[2:3], vcc
	s_xor_b64 s[2:3], exec, s[2:3]
	s_cbranch_execz .LBB19_3
; %bb.2:
	s_waitcnt lgkmcnt(0)
	v_mad_u64_u32 v[2:3], s[6:7], v0, s1, v[3:4]
                                        ; implicit-def: $vgpr3
.LBB19_3:
	s_or_saveexec_b64 s[2:3], s[2:3]
	v_mov_b32_e32 v0, 0
	v_mov_b32_e32 v1, 0
	s_xor_b64 exec, exec, s[2:3]
	s_cbranch_execz .LBB19_5
; %bb.4:
	s_waitcnt lgkmcnt(0)
	v_mad_u64_u32 v[2:3], s[6:7], v3, s1, v[3:4]
	v_mov_b32_e32 v0, 0
	v_mov_b32_e32 v1, 0x3ff00000
.LBB19_5:
	s_or_b64 exec, exec, s[2:3]
	s_load_dwordx2 s[2:3], s[4:5], 0x18
	s_load_dwordx2 s[6:7], s[4:5], 0x8
	s_waitcnt lgkmcnt(0)
	s_ashr_i32 s1, s0, 31
	v_mov_b32_e32 v3, 0
	v_lshlrev_b64 v[4:5], 4, v[2:3]
	s_mul_i32 s3, s3, s8
	s_mul_hi_u32 s4, s2, s8
	s_mul_i32 s2, s2, s8
	s_add_i32 s3, s4, s3
	s_lshl_b64 s[2:3], s[2:3], 4
	s_add_u32 s2, s6, s2
	s_addc_u32 s3, s7, s3
	s_lshl_b64 s[0:1], s[0:1], 4
	s_add_u32 s0, s2, s0
	s_addc_u32 s1, s3, s1
	v_mov_b32_e32 v2, s1
	v_add_co_u32_e32 v4, vcc, s0, v4
	v_addc_co_u32_e32 v5, vcc, v2, v5, vcc
	v_mov_b32_e32 v2, v3
	global_store_dwordx4 v[4:5], v[0:3], off
.LBB19_6:
	s_endpgm
	.section	.rodata,"a",@progbits
	.p2align	6, 0x0
	.amdhsa_kernel _ZN9rocsolver6v33100L10init_identI19rocblas_complex_numIdEPS3_EEviiT0_iil
		.amdhsa_group_segment_fixed_size 0
		.amdhsa_private_segment_fixed_size 0
		.amdhsa_kernarg_size 288
		.amdhsa_user_sgpr_count 6
		.amdhsa_user_sgpr_private_segment_buffer 1
		.amdhsa_user_sgpr_dispatch_ptr 0
		.amdhsa_user_sgpr_queue_ptr 0
		.amdhsa_user_sgpr_kernarg_segment_ptr 1
		.amdhsa_user_sgpr_dispatch_id 0
		.amdhsa_user_sgpr_flat_scratch_init 0
		.amdhsa_user_sgpr_private_segment_size 0
		.amdhsa_uses_dynamic_stack 0
		.amdhsa_system_sgpr_private_segment_wavefront_offset 0
		.amdhsa_system_sgpr_workgroup_id_x 1
		.amdhsa_system_sgpr_workgroup_id_y 1
		.amdhsa_system_sgpr_workgroup_id_z 1
		.amdhsa_system_sgpr_workgroup_info 0
		.amdhsa_system_vgpr_workitem_id 1
		.amdhsa_next_free_vgpr 6
		.amdhsa_next_free_sgpr 9
		.amdhsa_reserve_vcc 1
		.amdhsa_reserve_flat_scratch 0
		.amdhsa_float_round_mode_32 0
		.amdhsa_float_round_mode_16_64 0
		.amdhsa_float_denorm_mode_32 3
		.amdhsa_float_denorm_mode_16_64 3
		.amdhsa_dx10_clamp 1
		.amdhsa_ieee_mode 1
		.amdhsa_fp16_overflow 0
		.amdhsa_exception_fp_ieee_invalid_op 0
		.amdhsa_exception_fp_denorm_src 0
		.amdhsa_exception_fp_ieee_div_zero 0
		.amdhsa_exception_fp_ieee_overflow 0
		.amdhsa_exception_fp_ieee_underflow 0
		.amdhsa_exception_fp_ieee_inexact 0
		.amdhsa_exception_int_div_zero 0
	.end_amdhsa_kernel
	.section	.text._ZN9rocsolver6v33100L10init_identI19rocblas_complex_numIdEPS3_EEviiT0_iil,"axG",@progbits,_ZN9rocsolver6v33100L10init_identI19rocblas_complex_numIdEPS3_EEviiT0_iil,comdat
.Lfunc_end19:
	.size	_ZN9rocsolver6v33100L10init_identI19rocblas_complex_numIdEPS3_EEviiT0_iil, .Lfunc_end19-_ZN9rocsolver6v33100L10init_identI19rocblas_complex_numIdEPS3_EEviiT0_iil
                                        ; -- End function
	.set _ZN9rocsolver6v33100L10init_identI19rocblas_complex_numIdEPS3_EEviiT0_iil.num_vgpr, 6
	.set _ZN9rocsolver6v33100L10init_identI19rocblas_complex_numIdEPS3_EEviiT0_iil.num_agpr, 0
	.set _ZN9rocsolver6v33100L10init_identI19rocblas_complex_numIdEPS3_EEviiT0_iil.numbered_sgpr, 9
	.set _ZN9rocsolver6v33100L10init_identI19rocblas_complex_numIdEPS3_EEviiT0_iil.num_named_barrier, 0
	.set _ZN9rocsolver6v33100L10init_identI19rocblas_complex_numIdEPS3_EEviiT0_iil.private_seg_size, 0
	.set _ZN9rocsolver6v33100L10init_identI19rocblas_complex_numIdEPS3_EEviiT0_iil.uses_vcc, 1
	.set _ZN9rocsolver6v33100L10init_identI19rocblas_complex_numIdEPS3_EEviiT0_iil.uses_flat_scratch, 0
	.set _ZN9rocsolver6v33100L10init_identI19rocblas_complex_numIdEPS3_EEviiT0_iil.has_dyn_sized_stack, 0
	.set _ZN9rocsolver6v33100L10init_identI19rocblas_complex_numIdEPS3_EEviiT0_iil.has_recursion, 0
	.set _ZN9rocsolver6v33100L10init_identI19rocblas_complex_numIdEPS3_EEviiT0_iil.has_indirect_call, 0
	.section	.AMDGPU.csdata,"",@progbits
; Kernel info:
; codeLenInByte = 260
; TotalNumSgprs: 13
; NumVgprs: 6
; ScratchSize: 0
; MemoryBound: 0
; FloatMode: 240
; IeeeMode: 1
; LDSByteSize: 0 bytes/workgroup (compile time only)
; SGPRBlocks: 1
; VGPRBlocks: 1
; NumSGPRsForWavesPerEU: 13
; NumVGPRsForWavesPerEU: 6
; Occupancy: 10
; WaveLimiterHint : 0
; COMPUTE_PGM_RSRC2:SCRATCH_EN: 0
; COMPUTE_PGM_RSRC2:USER_SGPR: 6
; COMPUTE_PGM_RSRC2:TRAP_HANDLER: 0
; COMPUTE_PGM_RSRC2:TGID_X_EN: 1
; COMPUTE_PGM_RSRC2:TGID_Y_EN: 1
; COMPUTE_PGM_RSRC2:TGID_Z_EN: 1
; COMPUTE_PGM_RSRC2:TIDIG_COMP_CNT: 1
	.section	.text._ZN9rocsolver6v33100L11lasr_kernelI19rocblas_complex_numIdEdPS3_iEEv13rocblas_side_14rocblas_pivot_15rocblas_direct_T2_S8_PT0_lSA_lT1_lS8_lS8_,"axG",@progbits,_ZN9rocsolver6v33100L11lasr_kernelI19rocblas_complex_numIdEdPS3_iEEv13rocblas_side_14rocblas_pivot_15rocblas_direct_T2_S8_PT0_lSA_lT1_lS8_lS8_,comdat
	.globl	_ZN9rocsolver6v33100L11lasr_kernelI19rocblas_complex_numIdEdPS3_iEEv13rocblas_side_14rocblas_pivot_15rocblas_direct_T2_S8_PT0_lSA_lT1_lS8_lS8_ ; -- Begin function _ZN9rocsolver6v33100L11lasr_kernelI19rocblas_complex_numIdEdPS3_iEEv13rocblas_side_14rocblas_pivot_15rocblas_direct_T2_S8_PT0_lSA_lT1_lS8_lS8_
	.p2align	8
	.type	_ZN9rocsolver6v33100L11lasr_kernelI19rocblas_complex_numIdEdPS3_iEEv13rocblas_side_14rocblas_pivot_15rocblas_direct_T2_S8_PT0_lSA_lT1_lS8_lS8_,@function
_ZN9rocsolver6v33100L11lasr_kernelI19rocblas_complex_numIdEdPS3_iEEv13rocblas_side_14rocblas_pivot_15rocblas_direct_T2_S8_PT0_lSA_lT1_lS8_lS8_: ; @_ZN9rocsolver6v33100L11lasr_kernelI19rocblas_complex_numIdEdPS3_iEEv13rocblas_side_14rocblas_pivot_15rocblas_direct_T2_S8_PT0_lSA_lT1_lS8_lS8_
; %bb.0:
	s_load_dword s33, s[4:5], 0x58
	s_waitcnt lgkmcnt(0)
	s_cmp_ge_u32 s7, s33
	s_cbranch_scc1 .LBB20_108
; %bb.1:
	s_load_dword s24, s[4:5], 0x48
	s_load_dwordx2 s[26:27], s[4:5], 0x68
	s_load_dwordx4 s[20:23], s[4:5], 0x38
	s_load_dwordx4 s[16:19], s[4:5], 0x0
	s_load_dword s90, s[4:5], 0x10
	s_waitcnt lgkmcnt(0)
	s_ashr_i32 s25, s24, 31
	s_and_b32 s45, s27, 0xffff
	s_mul_i32 s6, s6, s45
	s_lshl_b64 s[2:3], s[22:23], 4
	v_add_u32_e32 v4, s6, v0
	s_add_u32 s6, s20, s2
	s_addc_u32 s27, s21, s3
	s_cmpk_eq_i32 s16, 0x8d
	s_cselect_b64 s[0:1], -1, 0
	s_cmpk_eq_i32 s16, 0x8e
	s_cselect_b64 s[8:9], -1, 0
	;; [unrolled: 2-line block ×7, first 2 shown]
	s_and_b64 s[22:23], s[0:1], s[10:11]
	s_and_b64 s[30:31], s[0:1], s[14:15]
	;; [unrolled: 1-line block ×5, first 2 shown]
	s_xor_b64 s[36:37], s[0:1], -1
	s_and_b64 s[0:1], s[8:9], s[10:11]
	s_and_b64 s[10:11], s[0:1], s[40:41]
	;; [unrolled: 1-line block ×3, first 2 shown]
	s_xor_b64 s[0:1], s[0:1], -1
                                        ; implicit-def: $vgpr56 : SGPR spill to VGPR lane
	s_xor_b64 s[38:39], s[10:11], -1
	v_writelane_b32 v56, s0, 0
	v_writelane_b32 v56, s1, 1
	s_and_b64 s[0:1], s[8:9], s[14:15]
	s_and_b64 s[10:11], s[0:1], s[40:41]
	s_xor_b64 s[10:11], s[10:11], -1
	v_writelane_b32 v56, s10, 2
	s_and_b64 s[0:1], s[0:1], s[42:43]
	v_writelane_b32 v56, s11, 3
	s_xor_b64 s[0:1], s[0:1], -1
	v_writelane_b32 v56, s0, 4
	s_and_b64 s[8:9], s[8:9], s[12:13]
	v_writelane_b32 v56, s1, 5
	s_and_b64 s[0:1], s[8:9], s[40:41]
	s_xor_b64 s[0:1], s[0:1], -1
	v_writelane_b32 v56, s0, 6
	v_writelane_b32 v56, s1, 7
	v_cmp_gt_i32_e64 s[0:1], s19, v4
	s_and_b64 s[10:11], s[42:43], s[0:1]
	s_and_b64 s[8:9], s[8:9], s[10:11]
	;; [unrolled: 1-line block ×6, first 2 shown]
	v_writelane_b32 v56, s8, 8
	s_xor_b64 s[16:17], s[16:17], -1
	s_xor_b64 s[22:23], s[22:23], -1
	;; [unrolled: 1-line block ×5, first 2 shown]
	v_writelane_b32 v56, s9, 9
	s_add_i32 s91, s90, -1
	s_add_i32 s50, s90, -2
	s_load_dwordx8 s[8:15], s[4:5], 0x18
	s_cmp_gt_i32 s90, 1
	s_cselect_b64 s[52:53], -1, 0
	s_ashr_i32 s55, s19, 31
	s_add_i32 s40, s19, -2
	s_cmp_gt_i32 s19, 1
	s_mov_b32 s51, 0
	s_cselect_b64 s[56:57], -1, 0
	s_lshl_b64 s[42:43], s[50:51], 3
	s_waitcnt lgkmcnt(0)
	s_add_u32 s18, s8, s42
	s_addc_u32 s92, s9, s43
	s_lshl_b64 s[10:11], s[10:11], 3
	s_load_dword s44, s[4:5], 0x60
	v_writelane_b32 v56, s18, 10
	s_add_u32 s93, s12, s42
	s_mul_i32 s18, s25, s50
	s_mul_hi_u32 s41, s24, s50
	s_addc_u32 s94, s13, s43
	s_add_i32 s43, s41, s18
	s_mul_i32 s42, s24, s50
	s_lshl_b64 s[42:43], s[42:43], 4
	s_lshl_b64 s[14:15], s[14:15], 3
	s_load_dwordx2 s[4:5], s[4:5], 0x50
	s_add_u32 s18, s42, s2
	s_addc_u32 s41, s43, s3
	v_ashrrev_i32_e32 v5, 31, v4
	s_add_u32 s18, s20, s18
	v_lshlrev_b64 v[0:1], 4, v[4:5]
	s_waitcnt lgkmcnt(0)
	s_mul_i32 s58, s44, s45
	s_addc_u32 s41, s21, s41
	s_ashr_i32 s59, s58, 31
	v_mov_b32_e32 v2, s41
	v_add_co_u32_e32 v16, vcc, s18, v0
	s_lshl_b64 s[60:61], s[4:5], 4
	s_lshl_b64 s[62:63], s[58:59], 4
	;; [unrolled: 1-line block ×3, first 2 shown]
	v_addc_co_u32_e32 v17, vcc, v2, v1, vcc
	s_sub_u32 s59, 0, s64
	s_mul_i32 s18, s25, s91
	s_mul_hi_u32 s25, s24, s91
	s_mul_i32 s66, s24, s91
	v_add_co_u32_e32 v18, vcc, 8, v16
	s_subb_u32 s95, 0, s65
	s_add_i32 s43, s25, s18
	s_mov_b32 s42, s66
	v_addc_co_u32_e32 v19, vcc, 0, v17, vcc
	s_lshl_b64 s[42:43], s[42:43], 4
	s_add_i32 s25, s90, 1
	v_mov_b32_e32 v2, s27
	v_add_co_u32_e32 v3, vcc, s6, v0
	s_add_u32 s18, s42, s2
	v_addc_co_u32_e32 v2, vcc, v2, v1, vcc
	s_addc_u32 s41, s43, s3
	v_add_co_u32_e32 v20, vcc, 8, v3
	s_add_u32 s18, s20, s18
	v_addc_co_u32_e32 v21, vcc, 0, v2, vcc
	s_addc_u32 s41, s21, s41
	v_mov_b32_e32 v2, s41
	v_add_co_u32_e32 v3, vcc, s18, v0
	s_add_u32 s18, s2, s64
	v_addc_co_u32_e32 v2, vcc, v2, v1, vcc
	s_addc_u32 s41, s3, s65
	v_add_co_u32_e32 v22, vcc, 8, v3
	s_add_u32 s18, s20, s18
	v_addc_co_u32_e32 v23, vcc, 0, v2, vcc
	s_addc_u32 s41, s21, s41
	v_mov_b32_e32 v2, s41
	v_add_co_u32_e32 v3, vcc, s18, v0
	v_addc_co_u32_e32 v2, vcc, v2, v1, vcc
	v_mad_i64_i32 v[0:1], s[42:43], s24, v4, 0
	v_add_co_u32_e32 v24, vcc, 8, v3
	v_lshlrev_b64 v[0:1], 4, v[0:1]
	v_addc_co_u32_e32 v25, vcc, 0, v2, vcc
	s_mov_b32 s41, s51
	v_mov_b32_e32 v2, s3
	v_add_co_u32_e32 v0, vcc, s2, v0
	s_add_i32 s50, s19, -1
	s_lshl_b64 s[2:3], s[40:41], 3
	s_add_u32 s48, s8, s2
	s_addc_u32 s49, s9, s3
	s_add_u32 s46, s12, s2
	s_addc_u32 s47, s13, s3
	s_lshl_b64 s[2:3], s[40:41], 4
	s_add_u32 s2, s20, s2
	v_addc_co_u32_e32 v1, vcc, v1, v2, vcc
	s_addc_u32 s3, s21, s3
	v_mov_b32_e32 v2, s3
	v_add_co_u32_e32 v26, vcc, s2, v0
	v_addc_co_u32_e32 v27, vcc, v2, v1, vcc
	v_add_co_u32_e32 v28, vcc, 8, v26
	v_addc_co_u32_e32 v29, vcc, 0, v27, vcc
	s_mul_hi_i32 s3, s24, s58
	s_mul_i32 s2, s24, s58
	v_mov_b32_e32 v2, s21
	v_add_co_u32_e32 v3, vcc, s20, v0
	s_lshl_b64 s[68:69], s[2:3], 4
	s_add_i32 s44, s19, 1
	s_lshl_b64 s[2:3], s[50:51], 4
	v_addc_co_u32_e32 v2, vcc, v2, v1, vcc
	s_add_u32 s2, s20, s2
	v_add_co_u32_e32 v30, vcc, 8, v3
	s_addc_u32 s3, s21, s3
	v_addc_co_u32_e32 v31, vcc, 0, v2, vcc
	v_mov_b32_e32 v5, s3
	v_add_co_u32_e32 v0, vcc, s2, v0
	v_addc_co_u32_e32 v1, vcc, v5, v1, vcc
	v_add_co_u32_e32 v32, vcc, 8, v0
	v_addc_co_u32_e32 v33, vcc, 0, v1, vcc
	;; [unrolled: 2-line block ×4, first 2 shown]
	s_mul_hi_i32 s67, s24, s91
	s_mov_b32 s54, s19
	v_mov_b32_e32 v38, 0
	v_cmp_gt_i32_e64 s[2:3], s90, v4
	s_branch .LBB20_4
.LBB20_2:                               ;   in Loop: Header=BB20_4 Depth=1
	s_or_b64 exec, exec, s[72:73]
.LBB20_3:                               ;   in Loop: Header=BB20_4 Depth=1
	s_add_i32 s7, s7, s26
	s_cmp_ge_u32 s7, s33
	s_cbranch_scc1 .LBB20_108
.LBB20_4:                               ; =>This Loop Header: Depth=1
                                        ;     Child Loop BB20_19 Depth 2
                                        ;       Child Loop BB20_20 Depth 3
                                        ;     Child Loop BB20_26 Depth 2
                                        ;       Child Loop BB20_27 Depth 3
	;; [unrolled: 2-line block ×12, first 2 shown]
	s_mul_i32 s18, s15, s7
	s_mul_hi_u32 s20, s14, s7
	s_add_i32 s40, s20, s18
	s_mul_i32 s41, s14, s7
	s_add_u32 s20, s12, s41
	s_mul_i32 s18, s11, s7
	s_mul_hi_u32 s42, s10, s7
	s_addc_u32 s21, s13, s40
	s_add_i32 s78, s42, s18
	s_mul_i32 s79, s10, s7
	s_add_u32 s70, s8, s79
	s_mul_i32 s18, s61, s7
	s_mul_hi_u32 s42, s60, s7
	s_addc_u32 s71, s9, s78
	s_add_i32 s42, s42, s18
	s_mul_i32 s18, s5, s7
	s_mul_hi_u32 s45, s4, s7
	s_add_i32 s73, s45, s18
	s_mul_i32 s72, s4, s7
	s_lshl_b64 s[72:73], s[72:73], 4
	s_add_u32 s45, s6, s72
	s_mul_i32 s43, s60, s7
	s_addc_u32 s51, s27, s73
	s_and_b64 vcc, exec, s[16:17]
	s_mov_b64 s[72:73], -1
	s_cbranch_vccnz .LBB20_6
; %bb.5:                                ;   in Loop: Header=BB20_4 Depth=1
	s_andn2_b64 vcc, exec, s[72:73]
	s_cbranch_vccnz .LBB20_3
	s_branch .LBB20_103
.LBB20_6:                               ;   in Loop: Header=BB20_4 Depth=1
	s_add_u32 s72, s48, s79
	s_addc_u32 s73, s49, s78
	s_add_u32 s74, s46, s41
	s_addc_u32 s75, s47, s40
	s_mov_b64 s[76:77], -1
	s_and_b64 vcc, exec, s[22:23]
	s_cbranch_vccz .LBB20_95
; %bb.7:                                ;   in Loop: Header=BB20_4 Depth=1
	s_and_b64 vcc, exec, s[28:29]
	s_cbranch_vccz .LBB20_87
; %bb.8:                                ;   in Loop: Header=BB20_4 Depth=1
	;; [unrolled: 3-line block ×3, first 2 shown]
	s_and_b64 vcc, exec, s[34:35]
	s_cbranch_vccz .LBB20_71
; %bb.10:                               ;   in Loop: Header=BB20_4 Depth=1
	s_and_b64 vcc, exec, s[36:37]
	s_cbranch_vccz .LBB20_63
; %bb.11:                               ;   in Loop: Header=BB20_4 Depth=1
	v_mov_b32_e32 v0, s42
	v_add_co_u32_e32 v5, vcc, s43, v20
	v_addc_co_u32_e32 v6, vcc, v21, v0, vcc
	s_and_b64 vcc, exec, s[38:39]
	s_cbranch_vccz .LBB20_55
; %bb.12:                               ;   in Loop: Header=BB20_4 Depth=1
	v_readlane_b32 s18, v56, 10
	s_add_u32 s76, s18, s79
	s_addc_u32 s77, s92, s78
	s_add_u32 s78, s93, s41
	v_mov_b32_e32 v0, s42
	v_add_co_u32_e32 v7, vcc, s43, v22
	s_addc_u32 s79, s94, s40
	v_readlane_b32 s40, v56, 0
	v_addc_co_u32_e32 v8, vcc, v23, v0, vcc
	v_readlane_b32 s41, v56, 1
	s_mov_b64 s[80:81], -1
	s_and_b64 vcc, exec, s[40:41]
	s_cbranch_vccz .LBB20_46
; %bb.13:                               ;   in Loop: Header=BB20_4 Depth=1
	v_readlane_b32 s40, v56, 2
	v_readlane_b32 s41, v56, 3
	s_and_b64 vcc, exec, s[40:41]
	s_cbranch_vccz .LBB20_38
; %bb.14:                               ;   in Loop: Header=BB20_4 Depth=1
	v_readlane_b32 s40, v56, 4
	v_readlane_b32 s41, v56, 5
	;; [unrolled: 5-line block ×3, first 2 shown]
	s_and_b64 vcc, exec, s[40:41]
	s_cbranch_vccz .LBB20_22
; %bb.16:                               ;   in Loop: Header=BB20_4 Depth=1
	s_mov_b64 s[80:81], exec
	v_readlane_b32 s40, v56, 8
	v_readlane_b32 s41, v56, 9
	s_and_b64 s[40:41], s[80:81], s[40:41]
	s_mov_b64 exec, s[40:41]
	s_cbranch_execz .LBB20_21
; %bb.17:                               ;   in Loop: Header=BB20_4 Depth=1
	s_lshl_b64 s[40:41], s[66:67], 4
	v_mov_b32_e32 v0, s42
	v_add_co_u32_e32 v9, vcc, s43, v18
	s_add_u32 s40, s45, s40
	v_addc_co_u32_e32 v10, vcc, v19, v0, vcc
	s_addc_u32 s41, s51, s41
	s_mov_b64 s[82:83], 0
	v_mov_b32_e32 v11, v4
	s_branch .LBB20_19
.LBB20_18:                              ;   in Loop: Header=BB20_19 Depth=2
	v_add_u32_e32 v11, s58, v11
	v_cmp_le_i32_e32 vcc, s19, v11
	s_waitcnt vmcnt(0)
	global_store_dwordx4 v[12:13], v[0:3], off
	s_or_b64 s[82:83], vcc, s[82:83]
	v_mov_b32_e32 v0, s63
	v_add_co_u32_e32 v9, vcc, s62, v9
	v_addc_co_u32_e32 v10, vcc, v10, v0, vcc
	s_andn2_b64 exec, exec, s[82:83]
	s_cbranch_execz .LBB20_21
.LBB20_19:                              ;   Parent Loop BB20_4 Depth=1
                                        ; =>  This Loop Header: Depth=2
                                        ;       Child Loop BB20_20 Depth 3
	v_ashrrev_i32_e32 v12, 31, v11
	v_lshlrev_b64 v[0:1], 4, v[11:12]
	v_mov_b32_e32 v2, s41
	v_add_co_u32_e32 v12, vcc, s40, v0
	v_addc_co_u32_e32 v13, vcc, v2, v1, vcc
	global_load_dwordx4 v[0:3], v[12:13], off
	v_mov_b32_e32 v15, v10
	s_andn2_b64 vcc, exec, s[52:53]
	v_mov_b32_e32 v14, v9
	s_mov_b64 s[84:85], s[78:79]
	s_mov_b64 s[86:87], s[76:77]
	s_mov_b32 s18, s91
	s_cbranch_vccnz .LBB20_18
.LBB20_20:                              ;   Parent Loop BB20_4 Depth=1
                                        ;     Parent Loop BB20_19 Depth=2
                                        ; =>    This Inner Loop Header: Depth=3
	global_load_dwordx4 v[39:42], v[14:15], off offset:-8
	global_load_dwordx2 v[43:44], v38, s[86:87]
	global_load_dwordx2 v[45:46], v38, s[84:85]
	s_add_i32 s18, s18, -1
	s_add_u32 s86, s86, -8
	s_addc_u32 s87, s87, -1
	s_add_u32 s84, s84, -8
	v_mov_b32_e32 v55, s95
	s_addc_u32 s85, s85, -1
	s_cmp_eq_u32 s18, 0
	s_waitcnt vmcnt(1)
	v_mul_f64 v[47:48], v[43:44], v[39:40]
	v_mul_f64 v[49:50], v[43:44], v[41:42]
	s_waitcnt vmcnt(0)
	v_mul_f64 v[51:52], v[45:46], v[39:40]
	v_mul_f64 v[53:54], v[45:46], v[41:42]
	v_fma_f64 v[39:40], v[0:1], v[45:46], v[47:48]
	v_fma_f64 v[41:42], v[2:3], v[45:46], v[49:50]
	v_fma_f64 v[0:1], v[0:1], v[43:44], -v[51:52]
	v_fma_f64 v[2:3], v[2:3], v[43:44], -v[53:54]
	global_store_dwordx4 v[14:15], v[39:42], off offset:-8
	v_add_co_u32_e32 v14, vcc, s59, v14
	v_addc_co_u32_e32 v15, vcc, v15, v55, vcc
	s_cbranch_scc0 .LBB20_20
	s_branch .LBB20_18
.LBB20_21:                              ;   in Loop: Header=BB20_4 Depth=1
	s_or_b64 exec, exec, s[80:81]
	s_mov_b64 s[80:81], 0
.LBB20_22:                              ;   in Loop: Header=BB20_4 Depth=1
	s_andn2_b64 vcc, exec, s[80:81]
	s_cbranch_vccnz .LBB20_29
; %bb.23:                               ;   in Loop: Header=BB20_4 Depth=1
	s_and_saveexec_b64 s[80:81], s[0:1]
	s_cbranch_execz .LBB20_28
; %bb.24:                               ;   in Loop: Header=BB20_4 Depth=1
	s_lshl_b64 s[40:41], s[66:67], 4
	s_add_u32 s40, s45, s40
	v_mov_b32_e32 v10, v6
	s_addc_u32 s41, s51, s41
	s_mov_b64 s[82:83], 0
	v_mov_b32_e32 v9, v5
	v_mov_b32_e32 v11, v4
	s_branch .LBB20_26
.LBB20_25:                              ;   in Loop: Header=BB20_26 Depth=2
	v_add_u32_e32 v11, s58, v11
	v_cmp_le_i32_e32 vcc, s19, v11
	s_waitcnt vmcnt(0)
	global_store_dwordx4 v[12:13], v[0:3], off
	s_or_b64 s[82:83], vcc, s[82:83]
	v_mov_b32_e32 v0, s63
	v_add_co_u32_e32 v9, vcc, s62, v9
	v_addc_co_u32_e32 v10, vcc, v10, v0, vcc
	s_andn2_b64 exec, exec, s[82:83]
	s_cbranch_execz .LBB20_28
.LBB20_26:                              ;   Parent Loop BB20_4 Depth=1
                                        ; =>  This Loop Header: Depth=2
                                        ;       Child Loop BB20_27 Depth 3
	v_ashrrev_i32_e32 v12, 31, v11
	v_lshlrev_b64 v[0:1], 4, v[11:12]
	v_mov_b32_e32 v2, s41
	v_add_co_u32_e32 v12, vcc, s40, v0
	v_addc_co_u32_e32 v13, vcc, v2, v1, vcc
	global_load_dwordx4 v[0:3], v[12:13], off
	v_mov_b32_e32 v15, v10
	s_andn2_b64 vcc, exec, s[52:53]
	v_mov_b32_e32 v14, v9
	s_mov_b64 s[84:85], s[20:21]
	s_mov_b64 s[86:87], s[70:71]
	s_mov_b32 s18, s91
	s_cbranch_vccnz .LBB20_25
.LBB20_27:                              ;   Parent Loop BB20_4 Depth=1
                                        ;     Parent Loop BB20_26 Depth=2
                                        ; =>    This Inner Loop Header: Depth=3
	global_load_dwordx4 v[39:42], v[14:15], off offset:-8
	global_load_dwordx2 v[43:44], v38, s[86:87]
	global_load_dwordx2 v[45:46], v38, s[84:85]
	s_add_i32 s18, s18, -1
	s_add_u32 s86, s86, 8
	s_addc_u32 s87, s87, 0
	s_add_u32 s84, s84, 8
	v_mov_b32_e32 v55, s65
	s_addc_u32 s85, s85, 0
	s_cmp_eq_u32 s18, 0
	s_waitcnt vmcnt(1)
	v_mul_f64 v[47:48], v[43:44], v[39:40]
	v_mul_f64 v[49:50], v[43:44], v[41:42]
	s_waitcnt vmcnt(0)
	v_mul_f64 v[51:52], v[45:46], v[39:40]
	v_mul_f64 v[53:54], v[45:46], v[41:42]
	v_fma_f64 v[39:40], v[0:1], v[45:46], v[47:48]
	v_fma_f64 v[41:42], v[2:3], v[45:46], v[49:50]
	v_fma_f64 v[0:1], v[0:1], v[43:44], -v[51:52]
	v_fma_f64 v[2:3], v[2:3], v[43:44], -v[53:54]
	global_store_dwordx4 v[14:15], v[39:42], off offset:-8
	v_add_co_u32_e32 v14, vcc, s64, v14
	v_addc_co_u32_e32 v15, vcc, v15, v55, vcc
	s_cbranch_scc0 .LBB20_27
	s_branch .LBB20_25
.LBB20_28:                              ;   in Loop: Header=BB20_4 Depth=1
	s_or_b64 exec, exec, s[80:81]
.LBB20_29:                              ;   in Loop: Header=BB20_4 Depth=1
	s_mov_b64 s[80:81], 0
.LBB20_30:                              ;   in Loop: Header=BB20_4 Depth=1
	s_andn2_b64 vcc, exec, s[80:81]
	s_cbranch_vccnz .LBB20_37
; %bb.31:                               ;   in Loop: Header=BB20_4 Depth=1
	s_and_saveexec_b64 s[80:81], s[0:1]
	s_cbranch_execz .LBB20_36
; %bb.32:                               ;   in Loop: Header=BB20_4 Depth=1
	v_mov_b32_e32 v10, v8
	s_mov_b64 s[82:83], 0
	v_mov_b32_e32 v9, v7
	v_mov_b32_e32 v11, v4
	s_branch .LBB20_34
.LBB20_33:                              ;   in Loop: Header=BB20_34 Depth=2
	v_add_u32_e32 v11, s58, v11
	v_cmp_le_i32_e32 vcc, s19, v11
	s_waitcnt vmcnt(0)
	global_store_dwordx4 v[12:13], v[0:3], off
	s_or_b64 s[82:83], vcc, s[82:83]
	v_mov_b32_e32 v0, s63
	v_add_co_u32_e32 v9, vcc, s62, v9
	v_addc_co_u32_e32 v10, vcc, v10, v0, vcc
	s_andn2_b64 exec, exec, s[82:83]
	s_cbranch_execz .LBB20_36
.LBB20_34:                              ;   Parent Loop BB20_4 Depth=1
                                        ; =>  This Loop Header: Depth=2
                                        ;       Child Loop BB20_35 Depth 3
	v_ashrrev_i32_e32 v12, 31, v11
	v_lshlrev_b64 v[0:1], 4, v[11:12]
	v_mov_b32_e32 v2, s51
	v_add_co_u32_e32 v12, vcc, s45, v0
	v_addc_co_u32_e32 v13, vcc, v2, v1, vcc
	global_load_dwordx4 v[0:3], v[12:13], off
	v_mov_b32_e32 v15, v10
	s_andn2_b64 vcc, exec, s[52:53]
	v_mov_b32_e32 v14, v9
	s_mov_b64 s[84:85], s[78:79]
	s_mov_b64 s[86:87], s[76:77]
	s_mov_b32 s40, s25
	s_cbranch_vccnz .LBB20_33
.LBB20_35:                              ;   Parent Loop BB20_4 Depth=1
                                        ;     Parent Loop BB20_34 Depth=2
                                        ; =>    This Inner Loop Header: Depth=3
	global_load_dwordx2 v[43:44], v38, s[84:85]
	global_load_dwordx4 v[39:42], v[14:15], off offset:-8
	global_load_dwordx2 v[45:46], v38, s[86:87]
	s_add_i32 s40, s40, -1
	s_add_u32 s86, s86, -8
	s_addc_u32 s87, s87, -1
	s_add_u32 s84, s84, -8
	v_mov_b32_e32 v53, s95
	s_addc_u32 s85, s85, -1
	s_cmp_lt_u32 s40, 3
	s_waitcnt vmcnt(2)
	v_mul_f64 v[47:48], v[0:1], v[43:44]
	v_mul_f64 v[49:50], v[2:3], v[43:44]
	s_waitcnt vmcnt(1)
	v_mul_f64 v[51:52], v[43:44], v[39:40]
	v_mul_f64 v[43:44], v[43:44], v[41:42]
	s_waitcnt vmcnt(0)
	v_fma_f64 v[39:40], v[45:46], v[39:40], -v[47:48]
	v_fma_f64 v[41:42], v[45:46], v[41:42], -v[49:50]
	v_fma_f64 v[0:1], v[0:1], v[45:46], v[51:52]
	v_fma_f64 v[2:3], v[2:3], v[45:46], v[43:44]
	global_store_dwordx4 v[14:15], v[39:42], off offset:-8
	v_add_co_u32_e32 v14, vcc, s59, v14
	v_addc_co_u32_e32 v15, vcc, v15, v53, vcc
	s_cbranch_scc0 .LBB20_35
	s_branch .LBB20_33
.LBB20_36:                              ;   in Loop: Header=BB20_4 Depth=1
	s_or_b64 exec, exec, s[80:81]
.LBB20_37:                              ;   in Loop: Header=BB20_4 Depth=1
	s_mov_b64 s[80:81], 0
.LBB20_38:                              ;   in Loop: Header=BB20_4 Depth=1
	s_andn2_b64 vcc, exec, s[80:81]
	s_cbranch_vccnz .LBB20_45
; %bb.39:                               ;   in Loop: Header=BB20_4 Depth=1
	s_and_saveexec_b64 s[80:81], s[0:1]
	s_cbranch_execz .LBB20_44
; %bb.40:                               ;   in Loop: Header=BB20_4 Depth=1
	v_mov_b32_e32 v0, s42
	v_add_co_u32_e32 v9, vcc, s43, v24
	v_addc_co_u32_e32 v10, vcc, v25, v0, vcc
	s_mov_b64 s[82:83], 0
	v_mov_b32_e32 v11, v4
	s_branch .LBB20_42
.LBB20_41:                              ;   in Loop: Header=BB20_42 Depth=2
	v_add_u32_e32 v11, s58, v11
	v_cmp_le_i32_e32 vcc, s19, v11
	s_waitcnt vmcnt(0)
	global_store_dwordx4 v[12:13], v[0:3], off
	s_or_b64 s[82:83], vcc, s[82:83]
	v_mov_b32_e32 v0, s63
	v_add_co_u32_e32 v9, vcc, s62, v9
	v_addc_co_u32_e32 v10, vcc, v10, v0, vcc
	s_andn2_b64 exec, exec, s[82:83]
	s_cbranch_execz .LBB20_44
.LBB20_42:                              ;   Parent Loop BB20_4 Depth=1
                                        ; =>  This Loop Header: Depth=2
                                        ;       Child Loop BB20_43 Depth 3
	v_ashrrev_i32_e32 v12, 31, v11
	v_lshlrev_b64 v[0:1], 4, v[11:12]
	v_mov_b32_e32 v2, s51
	v_add_co_u32_e32 v12, vcc, s45, v0
	v_addc_co_u32_e32 v13, vcc, v2, v1, vcc
	global_load_dwordx4 v[0:3], v[12:13], off
	v_mov_b32_e32 v15, v10
	s_andn2_b64 vcc, exec, s[52:53]
	v_mov_b32_e32 v14, v9
	s_mov_b32 s40, s91
	s_mov_b64 s[84:85], s[70:71]
	s_mov_b64 s[86:87], s[20:21]
	s_cbranch_vccnz .LBB20_41
.LBB20_43:                              ;   Parent Loop BB20_4 Depth=1
                                        ;     Parent Loop BB20_42 Depth=2
                                        ; =>    This Inner Loop Header: Depth=3
	global_load_dwordx2 v[43:44], v38, s[86:87]
	global_load_dwordx4 v[39:42], v[14:15], off offset:-8
	global_load_dwordx2 v[45:46], v38, s[84:85]
	s_add_u32 s86, s86, 8
	s_addc_u32 s87, s87, 0
	s_add_u32 s84, s84, 8
	v_mov_b32_e32 v53, s65
	s_addc_u32 s85, s85, 0
	s_add_i32 s40, s40, -1
	s_cmp_eq_u32 s40, 0
	s_waitcnt vmcnt(2)
	v_mul_f64 v[47:48], v[0:1], v[43:44]
	v_mul_f64 v[49:50], v[2:3], v[43:44]
	s_waitcnt vmcnt(1)
	v_mul_f64 v[51:52], v[43:44], v[39:40]
	v_mul_f64 v[43:44], v[43:44], v[41:42]
	s_waitcnt vmcnt(0)
	v_fma_f64 v[39:40], v[45:46], v[39:40], -v[47:48]
	v_fma_f64 v[41:42], v[45:46], v[41:42], -v[49:50]
	v_fma_f64 v[0:1], v[0:1], v[45:46], v[51:52]
	v_fma_f64 v[2:3], v[2:3], v[45:46], v[43:44]
	global_store_dwordx4 v[14:15], v[39:42], off offset:-8
	v_add_co_u32_e32 v14, vcc, s64, v14
	v_addc_co_u32_e32 v15, vcc, v15, v53, vcc
	s_cbranch_scc0 .LBB20_43
	s_branch .LBB20_41
.LBB20_44:                              ;   in Loop: Header=BB20_4 Depth=1
	s_or_b64 exec, exec, s[80:81]
.LBB20_45:                              ;   in Loop: Header=BB20_4 Depth=1
	s_mov_b64 s[80:81], 0
.LBB20_46:                              ;   in Loop: Header=BB20_4 Depth=1
	s_andn2_b64 vcc, exec, s[80:81]
	s_cbranch_vccnz .LBB20_54
; %bb.47:                               ;   in Loop: Header=BB20_4 Depth=1
	s_and_saveexec_b64 s[80:81], s[0:1]
	s_cbranch_execz .LBB20_53
; %bb.48:                               ;   in Loop: Header=BB20_4 Depth=1
	s_lshl_b64 s[40:41], s[66:67], 4
	v_mov_b32_e32 v0, s42
	v_add_co_u32_e32 v12, vcc, s43, v16
	s_add_u32 s40, s45, s40
	v_addc_co_u32_e32 v13, vcc, v17, v0, vcc
	s_addc_u32 s41, s51, s41
	s_mov_b64 s[82:83], 0
	v_mov_b32_e32 v9, v4
	s_branch .LBB20_50
.LBB20_49:                              ;   in Loop: Header=BB20_50 Depth=2
	v_mov_b32_e32 v14, s51
	v_add_co_u32_e32 v10, vcc, s45, v10
	v_addc_co_u32_e32 v11, vcc, v14, v11, vcc
	s_waitcnt vmcnt(0)
	global_store_dwordx4 v[10:11], v[0:3], off
	v_add_co_u32_e32 v12, vcc, s62, v12
	v_mov_b32_e32 v0, s63
	v_add_u32_e32 v9, s58, v9
	v_addc_co_u32_e32 v13, vcc, v13, v0, vcc
	v_cmp_le_i32_e32 vcc, s19, v9
	s_or_b64 s[82:83], vcc, s[82:83]
	v_add_co_u32_e32 v7, vcc, s62, v7
	v_addc_co_u32_e32 v8, vcc, v8, v0, vcc
	s_andn2_b64 exec, exec, s[82:83]
	s_cbranch_execz .LBB20_53
.LBB20_50:                              ;   Parent Loop BB20_4 Depth=1
                                        ; =>  This Loop Header: Depth=2
                                        ;       Child Loop BB20_52 Depth 3
	v_ashrrev_i32_e32 v10, 31, v9
	v_lshlrev_b64 v[10:11], 4, v[9:10]
	v_mov_b32_e32 v1, s41
	v_add_co_u32_e32 v0, vcc, s40, v10
	v_addc_co_u32_e32 v1, vcc, v1, v11, vcc
	global_load_dwordx4 v[0:3], v[0:1], off
	s_andn2_b64 vcc, exec, s[52:53]
	s_cbranch_vccnz .LBB20_49
; %bb.51:                               ;   in Loop: Header=BB20_50 Depth=2
	s_mov_b64 s[84:85], 0
	s_mov_b64 s[86:87], s[78:79]
	;; [unrolled: 1-line block ×3, first 2 shown]
	s_mov_b32 s18, s91
.LBB20_52:                              ;   Parent Loop BB20_4 Depth=1
                                        ;     Parent Loop BB20_50 Depth=2
                                        ; =>    This Inner Loop Header: Depth=3
	v_mov_b32_e32 v54, s85
	v_add_co_u32_e32 v39, vcc, s84, v12
	v_addc_co_u32_e32 v40, vcc, v13, v54, vcc
	global_load_dwordx2 v[14:15], v38, s[86:87]
	s_nop 0
	global_load_dwordx4 v[39:42], v[39:40], off
	s_nop 0
	global_load_dwordx2 v[43:44], v38, s[88:89]
	s_add_i32 s18, s18, -1
	v_add_co_u32_e32 v53, vcc, s84, v7
	s_sub_u32 s84, s84, s64
	s_subb_u32 s85, s85, s65
	s_add_u32 s88, s88, -8
	s_addc_u32 s89, s89, -1
	s_add_u32 s86, s86, -8
	s_addc_u32 s87, s87, -1
	v_addc_co_u32_e32 v54, vcc, v8, v54, vcc
	s_cmp_eq_u32 s18, 0
	s_waitcnt vmcnt(1)
	v_mul_f64 v[45:46], v[14:15], v[39:40]
	v_mul_f64 v[47:48], v[14:15], v[41:42]
	s_waitcnt vmcnt(0)
	v_mul_f64 v[49:50], v[43:44], v[39:40]
	v_mul_f64 v[51:52], v[43:44], v[41:42]
	v_fma_f64 v[39:40], v[0:1], v[43:44], -v[45:46]
	v_fma_f64 v[41:42], v[2:3], v[43:44], -v[47:48]
	v_fma_f64 v[0:1], v[0:1], v[14:15], v[49:50]
	v_fma_f64 v[2:3], v[2:3], v[14:15], v[51:52]
	global_store_dwordx4 v[53:54], v[39:42], off offset:-8
	s_cbranch_scc0 .LBB20_52
	s_branch .LBB20_49
.LBB20_53:                              ;   in Loop: Header=BB20_4 Depth=1
	s_or_b64 exec, exec, s[80:81]
.LBB20_54:                              ;   in Loop: Header=BB20_4 Depth=1
	s_mov_b64 s[76:77], 0
.LBB20_55:                              ;   in Loop: Header=BB20_4 Depth=1
	s_andn2_b64 vcc, exec, s[76:77]
	s_cbranch_vccnz .LBB20_62
; %bb.56:                               ;   in Loop: Header=BB20_4 Depth=1
	s_and_saveexec_b64 s[76:77], s[0:1]
	s_cbranch_execz .LBB20_61
; %bb.57:                               ;   in Loop: Header=BB20_4 Depth=1
	s_lshl_b64 s[40:41], s[66:67], 4
	s_add_u32 s40, s45, s40
	s_addc_u32 s41, s51, s41
	s_mov_b64 s[78:79], 0
	v_mov_b32_e32 v7, v4
	s_branch .LBB20_59
.LBB20_58:                              ;   in Loop: Header=BB20_59 Depth=2
	v_mov_b32_e32 v10, s41
	v_add_co_u32_e32 v8, vcc, s40, v8
	v_addc_co_u32_e32 v9, vcc, v10, v9, vcc
	v_add_u32_e32 v7, s58, v7
	v_cmp_le_i32_e32 vcc, s19, v7
	s_waitcnt vmcnt(0)
	global_store_dwordx4 v[8:9], v[0:3], off
	s_or_b64 s[78:79], vcc, s[78:79]
	v_mov_b32_e32 v0, s63
	v_add_co_u32_e32 v5, vcc, s62, v5
	v_addc_co_u32_e32 v6, vcc, v6, v0, vcc
	s_andn2_b64 exec, exec, s[78:79]
	s_cbranch_execz .LBB20_61
.LBB20_59:                              ;   Parent Loop BB20_4 Depth=1
                                        ; =>  This Loop Header: Depth=2
                                        ;       Child Loop BB20_60 Depth 3
	v_ashrrev_i32_e32 v8, 31, v7
	v_lshlrev_b64 v[8:9], 4, v[7:8]
	v_mov_b32_e32 v1, s51
	v_add_co_u32_e32 v0, vcc, s45, v8
	v_addc_co_u32_e32 v1, vcc, v1, v9, vcc
	global_load_dwordx4 v[0:3], v[0:1], off
	v_mov_b32_e32 v11, v6
	s_andn2_b64 vcc, exec, s[52:53]
	s_mov_b64 s[80:81], s[20:21]
	s_mov_b64 s[82:83], s[70:71]
	v_mov_b32_e32 v10, v5
	s_mov_b32 s18, s91
	s_cbranch_vccnz .LBB20_58
.LBB20_60:                              ;   Parent Loop BB20_4 Depth=1
                                        ;     Parent Loop BB20_59 Depth=2
                                        ; =>    This Inner Loop Header: Depth=3
	v_mov_b32_e32 v12, s65
	v_add_co_u32_e32 v43, vcc, s64, v10
	v_addc_co_u32_e32 v44, vcc, v11, v12, vcc
	global_load_dwordx4 v[12:15], v[43:44], off offset:-8
	global_load_dwordx2 v[39:40], v38, s[80:81]
	global_load_dwordx2 v[45:46], v38, s[82:83]
	s_add_i32 s18, s18, -1
	s_add_u32 s82, s82, 8
	s_addc_u32 s83, s83, 0
	s_add_u32 s80, s80, 8
	s_addc_u32 s81, s81, 0
	s_cmp_eq_u32 s18, 0
	s_waitcnt vmcnt(1)
	v_mul_f64 v[41:42], v[39:40], v[12:13]
	v_mul_f64 v[47:48], v[39:40], v[14:15]
	v_mul_f64 v[49:50], v[0:1], v[39:40]
	v_mul_f64 v[51:52], v[2:3], v[39:40]
	s_waitcnt vmcnt(0)
	v_fma_f64 v[39:40], v[0:1], v[45:46], v[41:42]
	v_fma_f64 v[41:42], v[2:3], v[45:46], v[47:48]
	v_fma_f64 v[0:1], v[45:46], v[12:13], -v[49:50]
	v_fma_f64 v[2:3], v[45:46], v[14:15], -v[51:52]
	global_store_dwordx4 v[10:11], v[39:42], off offset:-8
	v_mov_b32_e32 v10, v43
	v_mov_b32_e32 v11, v44
	s_cbranch_scc0 .LBB20_60
	s_branch .LBB20_58
.LBB20_61:                              ;   in Loop: Header=BB20_4 Depth=1
	s_or_b64 exec, exec, s[76:77]
.LBB20_62:                              ;   in Loop: Header=BB20_4 Depth=1
	s_mov_b64 s[76:77], 0
.LBB20_63:                              ;   in Loop: Header=BB20_4 Depth=1
	s_andn2_b64 vcc, exec, s[76:77]
	s_cbranch_vccnz .LBB20_70
; %bb.64:                               ;   in Loop: Header=BB20_4 Depth=1
	s_and_saveexec_b64 s[76:77], s[2:3]
	s_cbranch_execz .LBB20_69
; %bb.65:                               ;   in Loop: Header=BB20_4 Depth=1
	s_lshl_b64 s[40:41], s[54:55], 4
	v_mov_b32_e32 v0, s42
	v_add_co_u32_e32 v5, vcc, s43, v28
	s_add_u32 s40, s45, s40
	v_addc_co_u32_e32 v6, vcc, v29, v0, vcc
	s_addc_u32 s41, s51, s41
	s_mov_b64 s[78:79], 0
	v_mov_b32_e32 v11, v4
	s_branch .LBB20_67
.LBB20_66:                              ;   in Loop: Header=BB20_67 Depth=2
	v_add_u32_e32 v11, s58, v11
	v_cmp_le_i32_e32 vcc, s90, v11
	s_waitcnt vmcnt(0)
	global_store_dwordx4 v[7:8], v[0:3], off offset:-16
	s_or_b64 s[78:79], vcc, s[78:79]
	v_mov_b32_e32 v0, s69
	v_add_co_u32_e32 v5, vcc, s68, v5
	v_addc_co_u32_e32 v6, vcc, v6, v0, vcc
	s_andn2_b64 exec, exec, s[78:79]
	s_cbranch_execz .LBB20_69
.LBB20_67:                              ;   Parent Loop BB20_4 Depth=1
                                        ; =>  This Loop Header: Depth=2
                                        ;       Child Loop BB20_68 Depth 3
	v_mad_i64_i32 v[0:1], s[80:81], v11, s24, 0
	v_mov_b32_e32 v2, s41
	v_mov_b32_e32 v10, v6
	v_lshlrev_b64 v[0:1], 4, v[0:1]
	v_mov_b32_e32 v9, v5
	v_add_co_u32_e32 v7, vcc, s40, v0
	v_addc_co_u32_e32 v8, vcc, v2, v1, vcc
	global_load_dwordx4 v[0:3], v[7:8], off offset:-16
	s_andn2_b64 vcc, exec, s[56:57]
	s_mov_b64 s[80:81], s[74:75]
	s_mov_b64 s[82:83], s[72:73]
	s_mov_b32 s18, s50
	s_cbranch_vccnz .LBB20_66
.LBB20_68:                              ;   Parent Loop BB20_4 Depth=1
                                        ;     Parent Loop BB20_67 Depth=2
                                        ; =>    This Inner Loop Header: Depth=3
	global_load_dwordx4 v[12:15], v[9:10], off offset:-8
	global_load_dwordx2 v[39:40], v38, s[82:83]
	global_load_dwordx2 v[41:42], v38, s[80:81]
	s_add_i32 s18, s18, -1
	s_add_u32 s82, s82, -8
	s_addc_u32 s83, s83, -1
	s_add_u32 s80, s80, -8
	s_addc_u32 s81, s81, -1
	s_cmp_eq_u32 s18, 0
	s_waitcnt vmcnt(1)
	v_mul_f64 v[43:44], v[39:40], v[12:13]
	v_mul_f64 v[45:46], v[39:40], v[14:15]
	s_waitcnt vmcnt(0)
	v_mul_f64 v[47:48], v[41:42], v[12:13]
	v_mul_f64 v[49:50], v[41:42], v[14:15]
	v_fma_f64 v[12:13], v[0:1], v[41:42], v[43:44]
	v_fma_f64 v[14:15], v[2:3], v[41:42], v[45:46]
	v_fma_f64 v[0:1], v[0:1], v[39:40], -v[47:48]
	v_fma_f64 v[2:3], v[2:3], v[39:40], -v[49:50]
	global_store_dwordx4 v[9:10], v[12:15], off offset:-8
	v_add_co_u32_e32 v9, vcc, -16, v9
	v_addc_co_u32_e32 v10, vcc, -1, v10, vcc
	s_cbranch_scc0 .LBB20_68
	s_branch .LBB20_66
.LBB20_69:                              ;   in Loop: Header=BB20_4 Depth=1
	s_or_b64 exec, exec, s[76:77]
.LBB20_70:                              ;   in Loop: Header=BB20_4 Depth=1
	s_mov_b64 s[76:77], 0
.LBB20_71:                              ;   in Loop: Header=BB20_4 Depth=1
	s_andn2_b64 vcc, exec, s[76:77]
	s_cbranch_vccnz .LBB20_78
; %bb.72:                               ;   in Loop: Header=BB20_4 Depth=1
	s_and_saveexec_b64 s[76:77], s[2:3]
	s_cbranch_execz .LBB20_77
; %bb.73:                               ;   in Loop: Header=BB20_4 Depth=1
	s_lshl_b64 s[40:41], s[54:55], 4
	v_mov_b32_e32 v0, s42
	v_add_co_u32_e32 v5, vcc, s43, v30
	s_add_u32 s40, s45, s40
	v_addc_co_u32_e32 v6, vcc, v31, v0, vcc
	s_addc_u32 s41, s51, s41
	s_mov_b64 s[78:79], 0
	v_mov_b32_e32 v11, v4
	s_branch .LBB20_75
.LBB20_74:                              ;   in Loop: Header=BB20_75 Depth=2
	v_add_u32_e32 v11, s58, v11
	v_cmp_le_i32_e32 vcc, s90, v11
	s_waitcnt vmcnt(0)
	global_store_dwordx4 v[7:8], v[0:3], off offset:-16
	s_or_b64 s[78:79], vcc, s[78:79]
	v_mov_b32_e32 v0, s69
	v_add_co_u32_e32 v5, vcc, s68, v5
	v_addc_co_u32_e32 v6, vcc, v6, v0, vcc
	s_andn2_b64 exec, exec, s[78:79]
	s_cbranch_execz .LBB20_77
.LBB20_75:                              ;   Parent Loop BB20_4 Depth=1
                                        ; =>  This Loop Header: Depth=2
                                        ;       Child Loop BB20_76 Depth 3
	v_mad_i64_i32 v[0:1], s[80:81], v11, s24, 0
	v_mov_b32_e32 v2, s41
	v_mov_b32_e32 v10, v6
	v_lshlrev_b64 v[0:1], 4, v[0:1]
	v_mov_b32_e32 v9, v5
	v_add_co_u32_e32 v7, vcc, s40, v0
	v_addc_co_u32_e32 v8, vcc, v2, v1, vcc
	global_load_dwordx4 v[0:3], v[7:8], off offset:-16
	s_andn2_b64 vcc, exec, s[56:57]
	s_mov_b64 s[80:81], s[20:21]
	s_mov_b64 s[82:83], s[70:71]
	s_mov_b32 s18, s50
	s_cbranch_vccnz .LBB20_74
.LBB20_76:                              ;   Parent Loop BB20_4 Depth=1
                                        ;     Parent Loop BB20_75 Depth=2
                                        ; =>    This Inner Loop Header: Depth=3
	global_load_dwordx4 v[12:15], v[9:10], off offset:-8
	global_load_dwordx2 v[39:40], v38, s[82:83]
	global_load_dwordx2 v[41:42], v38, s[80:81]
	s_add_i32 s18, s18, -1
	s_add_u32 s82, s82, 8
	s_addc_u32 s83, s83, 0
	s_add_u32 s80, s80, 8
	s_addc_u32 s81, s81, 0
	s_cmp_eq_u32 s18, 0
	s_waitcnt vmcnt(1)
	v_mul_f64 v[43:44], v[39:40], v[12:13]
	v_mul_f64 v[45:46], v[39:40], v[14:15]
	s_waitcnt vmcnt(0)
	v_mul_f64 v[47:48], v[41:42], v[12:13]
	v_mul_f64 v[49:50], v[41:42], v[14:15]
	v_fma_f64 v[12:13], v[0:1], v[41:42], v[43:44]
	v_fma_f64 v[14:15], v[2:3], v[41:42], v[45:46]
	v_fma_f64 v[0:1], v[0:1], v[39:40], -v[47:48]
	v_fma_f64 v[2:3], v[2:3], v[39:40], -v[49:50]
	global_store_dwordx4 v[9:10], v[12:15], off offset:-8
	v_add_co_u32_e32 v9, vcc, 16, v9
	v_addc_co_u32_e32 v10, vcc, 0, v10, vcc
	s_cbranch_scc0 .LBB20_76
	s_branch .LBB20_74
.LBB20_77:                              ;   in Loop: Header=BB20_4 Depth=1
	s_or_b64 exec, exec, s[76:77]
.LBB20_78:                              ;   in Loop: Header=BB20_4 Depth=1
	s_mov_b64 s[76:77], 0
.LBB20_79:                              ;   in Loop: Header=BB20_4 Depth=1
	s_andn2_b64 vcc, exec, s[76:77]
	s_cbranch_vccnz .LBB20_86
; %bb.80:                               ;   in Loop: Header=BB20_4 Depth=1
	s_and_saveexec_b64 s[76:77], s[2:3]
	s_cbranch_execz .LBB20_85
; %bb.81:                               ;   in Loop: Header=BB20_4 Depth=1
	v_mov_b32_e32 v0, s42
	v_add_co_u32_e32 v5, vcc, s43, v32
	v_addc_co_u32_e32 v6, vcc, v33, v0, vcc
	s_mov_b64 s[78:79], 0
	v_mov_b32_e32 v11, v4
	s_branch .LBB20_83
.LBB20_82:                              ;   in Loop: Header=BB20_83 Depth=2
	v_add_u32_e32 v11, s58, v11
	v_cmp_le_i32_e32 vcc, s90, v11
	s_waitcnt vmcnt(0)
	global_store_dwordx4 v[7:8], v[0:3], off
	s_or_b64 s[78:79], vcc, s[78:79]
	v_mov_b32_e32 v0, s69
	v_add_co_u32_e32 v5, vcc, s68, v5
	v_addc_co_u32_e32 v6, vcc, v6, v0, vcc
	s_andn2_b64 exec, exec, s[78:79]
	s_cbranch_execz .LBB20_85
.LBB20_83:                              ;   Parent Loop BB20_4 Depth=1
                                        ; =>  This Loop Header: Depth=2
                                        ;       Child Loop BB20_84 Depth 3
	v_mad_i64_i32 v[0:1], s[40:41], v11, s24, 0
	v_mov_b32_e32 v2, s51
	v_mov_b32_e32 v10, v6
	v_lshlrev_b64 v[0:1], 4, v[0:1]
	v_mov_b32_e32 v9, v5
	v_add_co_u32_e32 v7, vcc, s45, v0
	v_addc_co_u32_e32 v8, vcc, v2, v1, vcc
	global_load_dwordx4 v[0:3], v[7:8], off
	s_andn2_b64 vcc, exec, s[56:57]
	s_mov_b64 s[80:81], s[74:75]
	s_mov_b64 s[82:83], s[72:73]
	s_mov_b32 s18, s44
	s_cbranch_vccnz .LBB20_82
.LBB20_84:                              ;   Parent Loop BB20_4 Depth=1
                                        ;     Parent Loop BB20_83 Depth=2
                                        ; =>    This Inner Loop Header: Depth=3
	global_load_dwordx2 v[39:40], v38, s[80:81]
	global_load_dwordx4 v[12:15], v[9:10], off offset:-8
	global_load_dwordx2 v[41:42], v38, s[82:83]
	s_add_i32 s18, s18, -1
	s_add_u32 s82, s82, -8
	s_addc_u32 s83, s83, -1
	s_add_u32 s80, s80, -8
	s_addc_u32 s81, s81, -1
	s_cmp_lt_u32 s18, 3
	s_waitcnt vmcnt(2)
	v_mul_f64 v[43:44], v[0:1], v[39:40]
	v_mul_f64 v[45:46], v[2:3], v[39:40]
	s_waitcnt vmcnt(1)
	v_mul_f64 v[47:48], v[39:40], v[12:13]
	v_mul_f64 v[39:40], v[39:40], v[14:15]
	s_waitcnt vmcnt(0)
	v_fma_f64 v[12:13], v[41:42], v[12:13], -v[43:44]
	v_fma_f64 v[14:15], v[41:42], v[14:15], -v[45:46]
	v_fma_f64 v[0:1], v[0:1], v[41:42], v[47:48]
	v_fma_f64 v[2:3], v[2:3], v[41:42], v[39:40]
	global_store_dwordx4 v[9:10], v[12:15], off offset:-8
	v_add_co_u32_e32 v9, vcc, -16, v9
	v_addc_co_u32_e32 v10, vcc, -1, v10, vcc
	s_cbranch_scc0 .LBB20_84
	s_branch .LBB20_82
.LBB20_85:                              ;   in Loop: Header=BB20_4 Depth=1
	s_or_b64 exec, exec, s[76:77]
.LBB20_86:                              ;   in Loop: Header=BB20_4 Depth=1
	s_mov_b64 s[76:77], 0
.LBB20_87:                              ;   in Loop: Header=BB20_4 Depth=1
	s_andn2_b64 vcc, exec, s[76:77]
	s_cbranch_vccnz .LBB20_94
; %bb.88:                               ;   in Loop: Header=BB20_4 Depth=1
	s_and_saveexec_b64 s[76:77], s[2:3]
	s_cbranch_execz .LBB20_93
; %bb.89:                               ;   in Loop: Header=BB20_4 Depth=1
	v_mov_b32_e32 v0, s42
	v_add_co_u32_e32 v5, vcc, s43, v34
	v_addc_co_u32_e32 v6, vcc, v35, v0, vcc
	s_mov_b64 s[78:79], 0
	v_mov_b32_e32 v11, v4
	s_branch .LBB20_91
.LBB20_90:                              ;   in Loop: Header=BB20_91 Depth=2
	v_add_u32_e32 v11, s58, v11
	v_cmp_le_i32_e32 vcc, s90, v11
	s_waitcnt vmcnt(0)
	global_store_dwordx4 v[7:8], v[0:3], off
	s_or_b64 s[78:79], vcc, s[78:79]
	v_mov_b32_e32 v0, s69
	v_add_co_u32_e32 v5, vcc, s68, v5
	v_addc_co_u32_e32 v6, vcc, v6, v0, vcc
	s_andn2_b64 exec, exec, s[78:79]
	s_cbranch_execz .LBB20_93
.LBB20_91:                              ;   Parent Loop BB20_4 Depth=1
                                        ; =>  This Loop Header: Depth=2
                                        ;       Child Loop BB20_92 Depth 3
	v_mad_i64_i32 v[0:1], s[40:41], v11, s24, 0
	v_mov_b32_e32 v2, s51
	v_mov_b32_e32 v10, v6
	v_lshlrev_b64 v[0:1], 4, v[0:1]
	v_mov_b32_e32 v9, v5
	v_add_co_u32_e32 v7, vcc, s45, v0
	v_addc_co_u32_e32 v8, vcc, v2, v1, vcc
	global_load_dwordx4 v[0:3], v[7:8], off
	s_andn2_b64 vcc, exec, s[56:57]
	s_mov_b32 s18, s50
	s_mov_b64 s[80:81], s[70:71]
	s_mov_b64 s[82:83], s[20:21]
	s_cbranch_vccnz .LBB20_90
.LBB20_92:                              ;   Parent Loop BB20_4 Depth=1
                                        ;     Parent Loop BB20_91 Depth=2
                                        ; =>    This Inner Loop Header: Depth=3
	global_load_dwordx2 v[39:40], v38, s[82:83]
	global_load_dwordx4 v[12:15], v[9:10], off
	global_load_dwordx2 v[41:42], v38, s[80:81]
	s_add_u32 s82, s82, 8
	s_addc_u32 s83, s83, 0
	s_add_u32 s80, s80, 8
	s_addc_u32 s81, s81, 0
	s_add_i32 s18, s18, -1
	s_cmp_eq_u32 s18, 0
	s_waitcnt vmcnt(2)
	v_mul_f64 v[43:44], v[0:1], v[39:40]
	v_mul_f64 v[45:46], v[2:3], v[39:40]
	s_waitcnt vmcnt(1)
	v_mul_f64 v[47:48], v[39:40], v[12:13]
	v_mul_f64 v[39:40], v[39:40], v[14:15]
	s_waitcnt vmcnt(0)
	v_fma_f64 v[12:13], v[41:42], v[12:13], -v[43:44]
	v_fma_f64 v[14:15], v[41:42], v[14:15], -v[45:46]
	v_fma_f64 v[0:1], v[0:1], v[41:42], v[47:48]
	v_fma_f64 v[2:3], v[2:3], v[41:42], v[39:40]
	global_store_dwordx4 v[9:10], v[12:15], off
	v_add_co_u32_e32 v9, vcc, 16, v9
	v_addc_co_u32_e32 v10, vcc, 0, v10, vcc
	s_cbranch_scc0 .LBB20_92
	s_branch .LBB20_90
.LBB20_93:                              ;   in Loop: Header=BB20_4 Depth=1
	s_or_b64 exec, exec, s[76:77]
.LBB20_94:                              ;   in Loop: Header=BB20_4 Depth=1
	s_mov_b64 s[76:77], 0
.LBB20_95:                              ;   in Loop: Header=BB20_4 Depth=1
	s_andn2_b64 vcc, exec, s[76:77]
	s_cbranch_vccnz .LBB20_102
; %bb.96:                               ;   in Loop: Header=BB20_4 Depth=1
	s_and_saveexec_b64 s[76:77], s[2:3]
	s_cbranch_execz .LBB20_101
; %bb.97:                               ;   in Loop: Header=BB20_4 Depth=1
	s_lshl_b64 s[40:41], s[54:55], 4
	v_mov_b32_e32 v0, s42
	v_add_co_u32_e32 v5, vcc, s43, v26
	s_add_u32 s40, s45, s40
	v_addc_co_u32_e32 v6, vcc, v27, v0, vcc
	s_addc_u32 s41, s51, s41
	s_mov_b64 s[78:79], 0
	v_mov_b32_e32 v11, v4
	s_branch .LBB20_99
.LBB20_98:                              ;   in Loop: Header=BB20_99 Depth=2
	v_mov_b32_e32 v9, s51
	v_add_co_u32_e32 v7, vcc, s45, v7
	v_addc_co_u32_e32 v8, vcc, v9, v8, vcc
	v_add_u32_e32 v11, s58, v11
	v_cmp_le_i32_e32 vcc, s90, v11
	s_waitcnt vmcnt(0)
	global_store_dwordx4 v[7:8], v[0:3], off
	s_or_b64 s[78:79], vcc, s[78:79]
	v_mov_b32_e32 v0, s69
	v_add_co_u32_e32 v5, vcc, s68, v5
	v_addc_co_u32_e32 v6, vcc, v6, v0, vcc
	s_andn2_b64 exec, exec, s[78:79]
	s_cbranch_execz .LBB20_101
.LBB20_99:                              ;   Parent Loop BB20_4 Depth=1
                                        ; =>  This Loop Header: Depth=2
                                        ;       Child Loop BB20_100 Depth 3
	v_mad_i64_i32 v[0:1], s[80:81], v11, s24, 0
	v_mov_b32_e32 v2, s41
	v_mov_b32_e32 v10, v6
	v_lshlrev_b64 v[7:8], 4, v[0:1]
	v_mov_b32_e32 v9, v5
	v_add_co_u32_e32 v0, vcc, s40, v7
	v_addc_co_u32_e32 v1, vcc, v2, v8, vcc
	global_load_dwordx4 v[0:3], v[0:1], off offset:-16
	s_andn2_b64 vcc, exec, s[56:57]
	s_mov_b64 s[80:81], s[74:75]
	s_mov_b64 s[82:83], s[72:73]
	s_mov_b32 s18, s50
	s_cbranch_vccnz .LBB20_98
.LBB20_100:                             ;   Parent Loop BB20_4 Depth=1
                                        ;     Parent Loop BB20_99 Depth=2
                                        ; =>    This Inner Loop Header: Depth=3
	global_load_dwordx4 v[12:15], v[9:10], off
	global_load_dwordx2 v[39:40], v38, s[80:81]
	global_load_dwordx2 v[41:42], v38, s[82:83]
	s_add_i32 s18, s18, -1
	s_add_u32 s82, s82, -8
	s_addc_u32 s83, s83, -1
	s_add_u32 s80, s80, -8
	s_addc_u32 s81, s81, -1
	s_cmp_eq_u32 s18, 0
	s_waitcnt vmcnt(1)
	v_mul_f64 v[43:44], v[39:40], v[12:13]
	v_mul_f64 v[45:46], v[39:40], v[14:15]
	s_waitcnt vmcnt(0)
	v_mul_f64 v[47:48], v[41:42], v[12:13]
	v_mul_f64 v[49:50], v[41:42], v[14:15]
	v_fma_f64 v[12:13], v[0:1], v[41:42], -v[43:44]
	v_fma_f64 v[14:15], v[2:3], v[41:42], -v[45:46]
	v_fma_f64 v[0:1], v[0:1], v[39:40], v[47:48]
	v_fma_f64 v[2:3], v[2:3], v[39:40], v[49:50]
	global_store_dwordx4 v[9:10], v[12:15], off offset:16
	v_add_co_u32_e32 v9, vcc, -16, v9
	v_addc_co_u32_e32 v10, vcc, -1, v10, vcc
	s_cbranch_scc0 .LBB20_100
	s_branch .LBB20_98
.LBB20_101:                             ;   in Loop: Header=BB20_4 Depth=1
	s_or_b64 exec, exec, s[76:77]
.LBB20_102:                             ;   in Loop: Header=BB20_4 Depth=1
	s_cbranch_execnz .LBB20_3
.LBB20_103:                             ;   in Loop: Header=BB20_4 Depth=1
	s_and_saveexec_b64 s[72:73], s[2:3]
	s_cbranch_execz .LBB20_2
; %bb.104:                              ;   in Loop: Header=BB20_4 Depth=1
	s_lshl_b64 s[40:41], s[54:55], 4
	v_mov_b32_e32 v0, s42
	v_add_co_u32_e32 v5, vcc, s43, v36
	s_add_u32 s40, s45, s40
	v_addc_co_u32_e32 v6, vcc, v37, v0, vcc
	s_addc_u32 s41, s51, s41
	s_mov_b64 s[74:75], 0
	v_mov_b32_e32 v11, v4
	s_branch .LBB20_106
.LBB20_105:                             ;   in Loop: Header=BB20_106 Depth=2
	v_mov_b32_e32 v9, s41
	v_add_co_u32_e32 v7, vcc, s40, v7
	v_addc_co_u32_e32 v8, vcc, v9, v8, vcc
	v_add_u32_e32 v11, s58, v11
	v_cmp_le_i32_e32 vcc, s90, v11
	s_waitcnt vmcnt(0)
	global_store_dwordx4 v[7:8], v[0:3], off offset:-16
	s_or_b64 s[74:75], vcc, s[74:75]
	v_mov_b32_e32 v0, s69
	v_add_co_u32_e32 v5, vcc, s68, v5
	v_addc_co_u32_e32 v6, vcc, v6, v0, vcc
	s_andn2_b64 exec, exec, s[74:75]
	s_cbranch_execz .LBB20_2
.LBB20_106:                             ;   Parent Loop BB20_4 Depth=1
                                        ; =>  This Loop Header: Depth=2
                                        ;       Child Loop BB20_107 Depth 3
	v_mad_i64_i32 v[0:1], s[42:43], v11, s24, 0
	v_mov_b32_e32 v2, s51
	v_mov_b32_e32 v10, v6
	v_lshlrev_b64 v[7:8], 4, v[0:1]
	v_mov_b32_e32 v9, v5
	v_add_co_u32_e32 v0, vcc, s45, v7
	v_addc_co_u32_e32 v1, vcc, v2, v8, vcc
	global_load_dwordx4 v[0:3], v[0:1], off
	s_andn2_b64 vcc, exec, s[56:57]
	s_mov_b64 s[76:77], s[70:71]
	s_mov_b64 s[78:79], s[20:21]
	s_mov_b32 s18, s50
	s_cbranch_vccnz .LBB20_105
.LBB20_107:                             ;   Parent Loop BB20_4 Depth=1
                                        ;     Parent Loop BB20_106 Depth=2
                                        ; =>    This Inner Loop Header: Depth=3
	global_load_dwordx4 v[12:15], v[9:10], off offset:-8
	global_load_dwordx2 v[39:40], v38, s[78:79]
	global_load_dwordx2 v[43:44], v38, s[76:77]
	s_add_i32 s18, s18, -1
	s_add_u32 s78, s78, 8
	s_addc_u32 s79, s79, 0
	s_add_u32 s76, s76, 8
	s_addc_u32 s77, s77, 0
	s_cmp_eq_u32 s18, 0
	s_waitcnt vmcnt(1)
	v_mul_f64 v[41:42], v[39:40], v[12:13]
	v_mul_f64 v[45:46], v[39:40], v[14:15]
	;; [unrolled: 1-line block ×4, first 2 shown]
	s_waitcnt vmcnt(0)
	v_fma_f64 v[39:40], v[0:1], v[43:44], v[41:42]
	v_fma_f64 v[41:42], v[2:3], v[43:44], v[45:46]
	v_fma_f64 v[0:1], v[43:44], v[12:13], -v[47:48]
	v_fma_f64 v[2:3], v[43:44], v[14:15], -v[49:50]
	global_store_dwordx4 v[9:10], v[39:42], off offset:-24
	v_add_co_u32_e32 v9, vcc, 16, v9
	v_addc_co_u32_e32 v10, vcc, 0, v10, vcc
	s_cbranch_scc0 .LBB20_107
	s_branch .LBB20_105
.LBB20_108:
	s_endpgm
	.section	.rodata,"a",@progbits
	.p2align	6, 0x0
	.amdhsa_kernel _ZN9rocsolver6v33100L11lasr_kernelI19rocblas_complex_numIdEdPS3_iEEv13rocblas_side_14rocblas_pivot_15rocblas_direct_T2_S8_PT0_lSA_lT1_lS8_lS8_
		.amdhsa_group_segment_fixed_size 0
		.amdhsa_private_segment_fixed_size 0
		.amdhsa_kernarg_size 352
		.amdhsa_user_sgpr_count 6
		.amdhsa_user_sgpr_private_segment_buffer 1
		.amdhsa_user_sgpr_dispatch_ptr 0
		.amdhsa_user_sgpr_queue_ptr 0
		.amdhsa_user_sgpr_kernarg_segment_ptr 1
		.amdhsa_user_sgpr_dispatch_id 0
		.amdhsa_user_sgpr_flat_scratch_init 0
		.amdhsa_user_sgpr_private_segment_size 0
		.amdhsa_uses_dynamic_stack 0
		.amdhsa_system_sgpr_private_segment_wavefront_offset 0
		.amdhsa_system_sgpr_workgroup_id_x 1
		.amdhsa_system_sgpr_workgroup_id_y 0
		.amdhsa_system_sgpr_workgroup_id_z 1
		.amdhsa_system_sgpr_workgroup_info 0
		.amdhsa_system_vgpr_workitem_id 0
		.amdhsa_next_free_vgpr 57
		.amdhsa_next_free_sgpr 96
		.amdhsa_reserve_vcc 1
		.amdhsa_reserve_flat_scratch 0
		.amdhsa_float_round_mode_32 0
		.amdhsa_float_round_mode_16_64 0
		.amdhsa_float_denorm_mode_32 3
		.amdhsa_float_denorm_mode_16_64 3
		.amdhsa_dx10_clamp 1
		.amdhsa_ieee_mode 1
		.amdhsa_fp16_overflow 0
		.amdhsa_exception_fp_ieee_invalid_op 0
		.amdhsa_exception_fp_denorm_src 0
		.amdhsa_exception_fp_ieee_div_zero 0
		.amdhsa_exception_fp_ieee_overflow 0
		.amdhsa_exception_fp_ieee_underflow 0
		.amdhsa_exception_fp_ieee_inexact 0
		.amdhsa_exception_int_div_zero 0
	.end_amdhsa_kernel
	.section	.text._ZN9rocsolver6v33100L11lasr_kernelI19rocblas_complex_numIdEdPS3_iEEv13rocblas_side_14rocblas_pivot_15rocblas_direct_T2_S8_PT0_lSA_lT1_lS8_lS8_,"axG",@progbits,_ZN9rocsolver6v33100L11lasr_kernelI19rocblas_complex_numIdEdPS3_iEEv13rocblas_side_14rocblas_pivot_15rocblas_direct_T2_S8_PT0_lSA_lT1_lS8_lS8_,comdat
.Lfunc_end20:
	.size	_ZN9rocsolver6v33100L11lasr_kernelI19rocblas_complex_numIdEdPS3_iEEv13rocblas_side_14rocblas_pivot_15rocblas_direct_T2_S8_PT0_lSA_lT1_lS8_lS8_, .Lfunc_end20-_ZN9rocsolver6v33100L11lasr_kernelI19rocblas_complex_numIdEdPS3_iEEv13rocblas_side_14rocblas_pivot_15rocblas_direct_T2_S8_PT0_lSA_lT1_lS8_lS8_
                                        ; -- End function
	.set _ZN9rocsolver6v33100L11lasr_kernelI19rocblas_complex_numIdEdPS3_iEEv13rocblas_side_14rocblas_pivot_15rocblas_direct_T2_S8_PT0_lSA_lT1_lS8_lS8_.num_vgpr, 57
	.set _ZN9rocsolver6v33100L11lasr_kernelI19rocblas_complex_numIdEdPS3_iEEv13rocblas_side_14rocblas_pivot_15rocblas_direct_T2_S8_PT0_lSA_lT1_lS8_lS8_.num_agpr, 0
	.set _ZN9rocsolver6v33100L11lasr_kernelI19rocblas_complex_numIdEdPS3_iEEv13rocblas_side_14rocblas_pivot_15rocblas_direct_T2_S8_PT0_lSA_lT1_lS8_lS8_.numbered_sgpr, 96
	.set _ZN9rocsolver6v33100L11lasr_kernelI19rocblas_complex_numIdEdPS3_iEEv13rocblas_side_14rocblas_pivot_15rocblas_direct_T2_S8_PT0_lSA_lT1_lS8_lS8_.num_named_barrier, 0
	.set _ZN9rocsolver6v33100L11lasr_kernelI19rocblas_complex_numIdEdPS3_iEEv13rocblas_side_14rocblas_pivot_15rocblas_direct_T2_S8_PT0_lSA_lT1_lS8_lS8_.private_seg_size, 0
	.set _ZN9rocsolver6v33100L11lasr_kernelI19rocblas_complex_numIdEdPS3_iEEv13rocblas_side_14rocblas_pivot_15rocblas_direct_T2_S8_PT0_lSA_lT1_lS8_lS8_.uses_vcc, 1
	.set _ZN9rocsolver6v33100L11lasr_kernelI19rocblas_complex_numIdEdPS3_iEEv13rocblas_side_14rocblas_pivot_15rocblas_direct_T2_S8_PT0_lSA_lT1_lS8_lS8_.uses_flat_scratch, 0
	.set _ZN9rocsolver6v33100L11lasr_kernelI19rocblas_complex_numIdEdPS3_iEEv13rocblas_side_14rocblas_pivot_15rocblas_direct_T2_S8_PT0_lSA_lT1_lS8_lS8_.has_dyn_sized_stack, 0
	.set _ZN9rocsolver6v33100L11lasr_kernelI19rocblas_complex_numIdEdPS3_iEEv13rocblas_side_14rocblas_pivot_15rocblas_direct_T2_S8_PT0_lSA_lT1_lS8_lS8_.has_recursion, 0
	.set _ZN9rocsolver6v33100L11lasr_kernelI19rocblas_complex_numIdEdPS3_iEEv13rocblas_side_14rocblas_pivot_15rocblas_direct_T2_S8_PT0_lSA_lT1_lS8_lS8_.has_indirect_call, 0
	.section	.AMDGPU.csdata,"",@progbits
; Kernel info:
; codeLenInByte = 5004
; TotalNumSgprs: 100
; NumVgprs: 57
; ScratchSize: 0
; MemoryBound: 0
; FloatMode: 240
; IeeeMode: 1
; LDSByteSize: 0 bytes/workgroup (compile time only)
; SGPRBlocks: 12
; VGPRBlocks: 14
; NumSGPRsForWavesPerEU: 100
; NumVGPRsForWavesPerEU: 57
; Occupancy: 4
; WaveLimiterHint : 0
; COMPUTE_PGM_RSRC2:SCRATCH_EN: 0
; COMPUTE_PGM_RSRC2:USER_SGPR: 6
; COMPUTE_PGM_RSRC2:TRAP_HANDLER: 0
; COMPUTE_PGM_RSRC2:TGID_X_EN: 1
; COMPUTE_PGM_RSRC2:TGID_Y_EN: 0
; COMPUTE_PGM_RSRC2:TGID_Z_EN: 1
; COMPUTE_PGM_RSRC2:TIDIG_COMP_CNT: 0
	.section	.text._ZN9rocsolver6v33100L11swap_kernelI19rocblas_complex_numIdEiEEvT0_PT_S4_S6_S4_,"axG",@progbits,_ZN9rocsolver6v33100L11swap_kernelI19rocblas_complex_numIdEiEEvT0_PT_S4_S6_S4_,comdat
	.globl	_ZN9rocsolver6v33100L11swap_kernelI19rocblas_complex_numIdEiEEvT0_PT_S4_S6_S4_ ; -- Begin function _ZN9rocsolver6v33100L11swap_kernelI19rocblas_complex_numIdEiEEvT0_PT_S4_S6_S4_
	.p2align	8
	.type	_ZN9rocsolver6v33100L11swap_kernelI19rocblas_complex_numIdEiEEvT0_PT_S4_S6_S4_,@function
_ZN9rocsolver6v33100L11swap_kernelI19rocblas_complex_numIdEiEEvT0_PT_S4_S6_S4_: ; @_ZN9rocsolver6v33100L11swap_kernelI19rocblas_complex_numIdEiEEvT0_PT_S4_S6_S4_
; %bb.0:
	s_load_dword s16, s[6:7], 0x0
	s_waitcnt lgkmcnt(0)
	s_cmp_lt_i32 s16, 1
	s_cbranch_scc1 .LBB21_10
; %bb.1:
	s_load_dwordx2 s[0:1], s[4:5], 0x4
	s_load_dword s9, s[6:7], 0x28
	s_load_dword s11, s[6:7], 0x34
	s_load_dwordx2 s[2:3], s[6:7], 0x8
	s_load_dword s12, s[6:7], 0x10
	s_nop 0
	s_load_dwordx2 s[4:5], s[6:7], 0x18
	s_load_dword s10, s[6:7], 0x20
	s_waitcnt lgkmcnt(0)
	s_lshr_b32 s0, s0, 16
	s_mul_i32 s0, s0, s1
	v_mul_lo_u32 v3, s0, v0
	s_and_b32 s0, s11, 0xffff
	s_cmp_eq_u32 s12, 1
	v_mul_u32_u24_e32 v1, s1, v1
	s_mul_i32 s8, s8, s0
	s_mul_i32 s6, s9, s0
	s_cselect_b64 s[0:1], -1, 0
	s_cmp_eq_u32 s10, 1
	v_add_u32_e32 v0, s8, v0
	s_cselect_b64 s[8:9], -1, 0
	s_and_b64 s[14:15], s[0:1], s[8:9]
	v_add3_u32 v5, v3, v1, v2
	v_cmp_gt_i32_e64 s[0:1], s16, v0
	s_mov_b64 s[8:9], -1
	s_and_b64 vcc, exec, s[14:15]
	s_cbranch_vccnz .LBB21_6
; %bb.2:
	s_and_saveexec_b64 s[8:9], s[0:1]
	s_cbranch_execz .LBB21_5
; %bb.3:
	v_mad_i64_i32 v[1:2], s[14:15], s10, v0, 0
	v_mov_b32_e32 v3, s5
	s_mul_hi_i32 s11, s10, s6
	v_lshlrev_b64 v[1:2], 4, v[1:2]
	s_mul_i32 s10, s10, s6
	v_add_co_u32_e32 v1, vcc, s4, v1
	v_addc_co_u32_e32 v2, vcc, v3, v2, vcc
	v_mad_i64_i32 v[3:4], s[14:15], s12, v0, 0
	s_mul_hi_i32 s13, s12, s6
	s_mul_i32 s12, s12, s6
	v_lshlrev_b64 v[3:4], 4, v[3:4]
	s_lshl_b64 s[10:11], s[10:11], 4
	v_mov_b32_e32 v7, s3
	v_add_co_u32_e32 v3, vcc, s2, v3
	s_lshl_b64 s[12:13], s[12:13], 4
	v_lshlrev_b32_e32 v6, 4, v5
	v_addc_co_u32_e32 v4, vcc, v7, v4, vcc
	s_mov_b64 s[14:15], 0
	v_mov_b32_e32 v7, s11
	v_mov_b32_e32 v8, s13
	v_mov_b32_e32 v9, v0
.LBB21_4:                               ; =>This Inner Loop Header: Depth=1
	global_load_dwordx4 v[10:13], v[1:2], off
	global_load_dwordx4 v[14:17], v[3:4], off
	v_add_u32_e32 v9, s6, v9
	v_cmp_le_i32_e32 vcc, s16, v9
	s_or_b64 s[14:15], vcc, s[14:15]
	s_waitcnt vmcnt(1)
	ds_write2_b64 v6, v[10:11], v[12:13] offset1:1
	s_waitcnt vmcnt(0)
	global_store_dwordx4 v[1:2], v[14:17], off
	global_store_dwordx4 v[3:4], v[10:13], off
	v_add_co_u32_e32 v1, vcc, s10, v1
	v_addc_co_u32_e32 v2, vcc, v2, v7, vcc
	v_add_co_u32_e32 v3, vcc, s12, v3
	v_addc_co_u32_e32 v4, vcc, v4, v8, vcc
	s_andn2_b64 exec, exec, s[14:15]
	s_cbranch_execnz .LBB21_4
.LBB21_5:
	s_or_b64 exec, exec, s[8:9]
	s_mov_b64 s[8:9], 0
.LBB21_6:
	s_andn2_b64 vcc, exec, s[8:9]
	s_cbranch_vccnz .LBB21_10
; %bb.7:
	s_and_saveexec_b64 s[8:9], s[0:1]
	s_cbranch_execz .LBB21_10
; %bb.8:
	v_mov_b32_e32 v1, 0x4000
	v_lshl_add_u32 v3, v5, 4, v1
	v_ashrrev_i32_e32 v1, 31, v0
	s_ashr_i32 s7, s6, 31
	v_lshlrev_b64 v[1:2], 4, v[0:1]
	s_lshl_b64 s[0:1], s[6:7], 4
	s_mov_b64 s[8:9], 0
	v_mov_b32_e32 v4, s5
	v_mov_b32_e32 v5, s3
	v_mov_b32_e32 v6, s1
.LBB21_9:                               ; =>This Inner Loop Header: Depth=1
	v_add_co_u32_e32 v15, vcc, s4, v1
	v_addc_co_u32_e32 v16, vcc, v4, v2, vcc
	v_add_co_u32_e32 v17, vcc, s2, v1
	v_addc_co_u32_e32 v18, vcc, v5, v2, vcc
	global_load_dwordx4 v[7:10], v[15:16], off
	global_load_dwordx4 v[11:14], v[17:18], off
	v_add_co_u32_e32 v1, vcc, s0, v1
	v_add_u32_e32 v0, s6, v0
	v_addc_co_u32_e32 v2, vcc, v2, v6, vcc
	v_cmp_le_i32_e32 vcc, s16, v0
	s_or_b64 s[8:9], vcc, s[8:9]
	s_waitcnt vmcnt(1)
	ds_write2_b64 v3, v[7:8], v[9:10] offset1:1
	s_waitcnt vmcnt(0)
	global_store_dwordx4 v[15:16], v[11:14], off
	global_store_dwordx4 v[17:18], v[7:10], off
	s_andn2_b64 exec, exec, s[8:9]
	s_cbranch_execnz .LBB21_9
.LBB21_10:
	s_endpgm
	.section	.rodata,"a",@progbits
	.p2align	6, 0x0
	.amdhsa_kernel _ZN9rocsolver6v33100L11swap_kernelI19rocblas_complex_numIdEiEEvT0_PT_S4_S6_S4_
		.amdhsa_group_segment_fixed_size 32768
		.amdhsa_private_segment_fixed_size 0
		.amdhsa_kernarg_size 296
		.amdhsa_user_sgpr_count 8
		.amdhsa_user_sgpr_private_segment_buffer 1
		.amdhsa_user_sgpr_dispatch_ptr 1
		.amdhsa_user_sgpr_queue_ptr 0
		.amdhsa_user_sgpr_kernarg_segment_ptr 1
		.amdhsa_user_sgpr_dispatch_id 0
		.amdhsa_user_sgpr_flat_scratch_init 0
		.amdhsa_user_sgpr_private_segment_size 0
		.amdhsa_uses_dynamic_stack 0
		.amdhsa_system_sgpr_private_segment_wavefront_offset 0
		.amdhsa_system_sgpr_workgroup_id_x 1
		.amdhsa_system_sgpr_workgroup_id_y 0
		.amdhsa_system_sgpr_workgroup_id_z 0
		.amdhsa_system_sgpr_workgroup_info 0
		.amdhsa_system_vgpr_workitem_id 2
		.amdhsa_next_free_vgpr 19
		.amdhsa_next_free_sgpr 17
		.amdhsa_reserve_vcc 1
		.amdhsa_reserve_flat_scratch 0
		.amdhsa_float_round_mode_32 0
		.amdhsa_float_round_mode_16_64 0
		.amdhsa_float_denorm_mode_32 3
		.amdhsa_float_denorm_mode_16_64 3
		.amdhsa_dx10_clamp 1
		.amdhsa_ieee_mode 1
		.amdhsa_fp16_overflow 0
		.amdhsa_exception_fp_ieee_invalid_op 0
		.amdhsa_exception_fp_denorm_src 0
		.amdhsa_exception_fp_ieee_div_zero 0
		.amdhsa_exception_fp_ieee_overflow 0
		.amdhsa_exception_fp_ieee_underflow 0
		.amdhsa_exception_fp_ieee_inexact 0
		.amdhsa_exception_int_div_zero 0
	.end_amdhsa_kernel
	.section	.text._ZN9rocsolver6v33100L11swap_kernelI19rocblas_complex_numIdEiEEvT0_PT_S4_S6_S4_,"axG",@progbits,_ZN9rocsolver6v33100L11swap_kernelI19rocblas_complex_numIdEiEEvT0_PT_S4_S6_S4_,comdat
.Lfunc_end21:
	.size	_ZN9rocsolver6v33100L11swap_kernelI19rocblas_complex_numIdEiEEvT0_PT_S4_S6_S4_, .Lfunc_end21-_ZN9rocsolver6v33100L11swap_kernelI19rocblas_complex_numIdEiEEvT0_PT_S4_S6_S4_
                                        ; -- End function
	.set _ZN9rocsolver6v33100L11swap_kernelI19rocblas_complex_numIdEiEEvT0_PT_S4_S6_S4_.num_vgpr, 19
	.set _ZN9rocsolver6v33100L11swap_kernelI19rocblas_complex_numIdEiEEvT0_PT_S4_S6_S4_.num_agpr, 0
	.set _ZN9rocsolver6v33100L11swap_kernelI19rocblas_complex_numIdEiEEvT0_PT_S4_S6_S4_.numbered_sgpr, 17
	.set _ZN9rocsolver6v33100L11swap_kernelI19rocblas_complex_numIdEiEEvT0_PT_S4_S6_S4_.num_named_barrier, 0
	.set _ZN9rocsolver6v33100L11swap_kernelI19rocblas_complex_numIdEiEEvT0_PT_S4_S6_S4_.private_seg_size, 0
	.set _ZN9rocsolver6v33100L11swap_kernelI19rocblas_complex_numIdEiEEvT0_PT_S4_S6_S4_.uses_vcc, 1
	.set _ZN9rocsolver6v33100L11swap_kernelI19rocblas_complex_numIdEiEEvT0_PT_S4_S6_S4_.uses_flat_scratch, 0
	.set _ZN9rocsolver6v33100L11swap_kernelI19rocblas_complex_numIdEiEEvT0_PT_S4_S6_S4_.has_dyn_sized_stack, 0
	.set _ZN9rocsolver6v33100L11swap_kernelI19rocblas_complex_numIdEiEEvT0_PT_S4_S6_S4_.has_recursion, 0
	.set _ZN9rocsolver6v33100L11swap_kernelI19rocblas_complex_numIdEiEEvT0_PT_S4_S6_S4_.has_indirect_call, 0
	.section	.AMDGPU.csdata,"",@progbits
; Kernel info:
; codeLenInByte = 536
; TotalNumSgprs: 21
; NumVgprs: 19
; ScratchSize: 0
; MemoryBound: 0
; FloatMode: 240
; IeeeMode: 1
; LDSByteSize: 32768 bytes/workgroup (compile time only)
; SGPRBlocks: 2
; VGPRBlocks: 4
; NumSGPRsForWavesPerEU: 21
; NumVGPRsForWavesPerEU: 19
; Occupancy: 8
; WaveLimiterHint : 0
; COMPUTE_PGM_RSRC2:SCRATCH_EN: 0
; COMPUTE_PGM_RSRC2:USER_SGPR: 8
; COMPUTE_PGM_RSRC2:TRAP_HANDLER: 0
; COMPUTE_PGM_RSRC2:TGID_X_EN: 1
; COMPUTE_PGM_RSRC2:TGID_Y_EN: 0
; COMPUTE_PGM_RSRC2:TGID_Z_EN: 0
; COMPUTE_PGM_RSRC2:TIDIG_COMP_CNT: 2
	.section	.text._ZN9rocsolver6v33100L12steqr_kernelI19rocblas_complex_numIdEdPS3_EEviPT0_lS6_lT1_iilPiS6_iS5_S5_S5_,"axG",@progbits,_ZN9rocsolver6v33100L12steqr_kernelI19rocblas_complex_numIdEdPS3_EEviPT0_lS6_lT1_iilPiS6_iS5_S5_S5_,comdat
	.globl	_ZN9rocsolver6v33100L12steqr_kernelI19rocblas_complex_numIdEdPS3_EEviPT0_lS6_lT1_iilPiS6_iS5_S5_S5_ ; -- Begin function _ZN9rocsolver6v33100L12steqr_kernelI19rocblas_complex_numIdEdPS3_EEviPT0_lS6_lT1_iilPiS6_iS5_S5_S5_
	.p2align	8
	.type	_ZN9rocsolver6v33100L12steqr_kernelI19rocblas_complex_numIdEdPS3_EEviPT0_lS6_lT1_iilPiS6_iS5_S5_S5_,@function
_ZN9rocsolver6v33100L12steqr_kernelI19rocblas_complex_numIdEdPS3_EEviPT0_lS6_lT1_iilPiS6_iS5_S5_S5_: ; @_ZN9rocsolver6v33100L12steqr_kernelI19rocblas_complex_numIdEdPS3_EEviPT0_lS6_lT1_iilPiS6_iS5_S5_S5_
; %bb.0:
	s_mov_b64 s[98:99], s[2:3]
	s_mov_b64 s[96:97], s[0:1]
	s_add_u32 s96, s96, s10
	s_addc_u32 s97, s97, 0
                                        ; implicit-def: $vgpr63 : SGPR spill to VGPR lane
	buffer_store_dword v2, off, s[96:99], 0 offset:20 ; 4-byte Folded Spill
	buffer_store_dword v1, off, s[96:99], 0 offset:28 ; 4-byte Folded Spill
	v_writelane_b32 v63, s4, 0
	v_writelane_b32 v63, s5, 1
	s_load_dword s0, s[6:7], 0x7c
	s_load_dword s4, s[6:7], 0x70
	s_mov_b32 s38, s9
	buffer_store_dword v0, off, s[96:99], 0 offset:24 ; 4-byte Folded Spill
	s_waitcnt lgkmcnt(0)
	s_and_b32 s5, s0, 0xffff
	s_mul_i32 s8, s8, s5
	v_add_u32_e32 v7, s8, v0
	v_cmp_eq_u32_e64 s[0:1], 0, v7
	s_and_saveexec_b64 s[2:3], s[0:1]
; %bb.1:
	v_mov_b32_e32 v0, 0
	ds_write2_b32 v0, v0, v0 offset0:6 offset1:9
; %bb.2:
	s_or_b64 exec, exec, s[2:3]
	s_load_dword s10, s[6:7], 0x0
	s_load_dwordx8 s[20:27], s[6:7], 0x8
	s_load_dwordx8 s[12:19], s[6:7], 0x28
	s_load_dwordx2 s[52:53], s[6:7], 0x48
	s_load_dword s33, s[6:7], 0x50
	s_ashr_i32 s39, s38, 31
	s_waitcnt lgkmcnt(0)
	s_mul_hi_u32 s2, s22, s38
	s_mul_i32 s3, s22, s39
	s_add_i32 s2, s2, s3
	s_mul_i32 s3, s23, s38
	s_add_i32 s3, s2, s3
	s_mul_i32 s2, s22, s38
	s_lshl_b64 s[34:35], s[2:3], 3
	s_add_u32 s22, s20, s34
	s_mul_hi_u32 s2, s26, s38
	s_mul_i32 s3, s26, s39
	s_addc_u32 s23, s21, s35
	s_add_i32 s2, s2, s3
	s_mul_i32 s3, s27, s38
	s_add_i32 s43, s2, s3
	s_ashr_i32 s3, s14, 31
	s_mov_b32 s2, s14
	v_mov_b32_e32 v9, 0
	v_writelane_b32 v63, s2, 2
	s_waitcnt vmcnt(0)
	s_barrier
	ds_read2_b32 v[1:2], v9 offset0:6 offset1:9
	v_writelane_b32 v63, s3, 3
	s_mul_hi_u32 s2, s16, s38
	s_mul_i32 s3, s16, s39
	s_add_i32 s2, s2, s3
	s_mul_i32 s3, s17, s38
	s_add_i32 s3, s2, s3
	s_mul_i32 s2, s16, s38
	v_writelane_b32 v63, s2, 4
	v_writelane_b32 v63, s3, 5
	s_waitcnt lgkmcnt(0)
	v_cmp_gt_i32_e32 vcc, s10, v1
	v_cmp_gt_i32_e64 s[2:3], s33, v2
	s_and_b64 s[2:3], vcc, s[2:3]
	s_mul_i32 s36, s4, s5
	s_mul_i32 s42, s26, s38
	v_readfirstlane_b32 s8, v1
	s_andn2_b64 vcc, exec, s[2:3]
	s_add_i32 s40, s10, -1
	s_cbranch_vccnz .LBB22_223
; %bb.3:
	s_lshl_b32 s4, s10, 1
	s_lshl_b64 s[2:3], s[42:43], 3
	s_add_u32 s14, s24, s2
	s_addc_u32 s92, s25, s3
	v_readlane_b32 s2, v63, 4
	v_readlane_b32 s3, v63, 5
	s_load_dwordx4 s[28:31], s[6:7], 0x58
	s_load_dwordx2 s[44:45], s[6:7], 0x68
	s_lshl_b64 s[6:7], s[2:3], 4
	v_readlane_b32 s16, v63, 2
	s_add_u32 s2, s12, s6
	v_readlane_b32 s17, v63, 3
	s_addc_u32 s3, s13, s7
	s_lshl_b64 s[26:27], s[16:17], 4
	s_add_u32 s93, s2, s26
	s_addc_u32 s94, s3, s27
	s_mul_hi_i32 s3, s4, s38
	s_mul_i32 s2, s4, s38
	s_lshl_b64 s[56:57], s[2:3], 3
	s_add_u32 s95, s52, s56
	s_addc_u32 s66, s53, s57
	s_ashr_i32 s11, s10, 31
	s_ashr_i32 s47, s15, 31
	s_add_u32 s67, s20, s34
	s_addc_u32 s4, s21, s35
	s_add_u32 s5, s67, 8
	s_addc_u32 s54, s4, 0
	s_ashr_i32 s37, s36, 31
	s_lshl_b64 s[48:49], s[36:37], 3
	s_lshl_b64 s[50:51], s[10:11], 3
	s_add_u32 s9, s56, s50
	s_addc_u32 s11, s57, s51
	s_add_u32 s9, s52, s9
	s_addc_u32 s11, s53, s11
	s_add_u32 s16, s9, -16
	s_addc_u32 s17, s11, -1
	v_writelane_b32 v63, s16, 6
	v_writelane_b32 v63, s17, 7
	s_add_u32 s16, s95, -8
	s_addc_u32 s17, s66, -1
	s_add_u32 s56, s14, -8
	s_addc_u32 s57, s92, -1
	;; [unrolled: 2-line block ×3, first 2 shown]
	s_add_u32 s6, s6, s26
	s_waitcnt lgkmcnt(0)
	v_mul_f64 v[11:12], s[28:29], s[28:29]
	s_addc_u32 s7, s7, s27
	v_ashrrev_i32_e32 v8, 31, v7
	v_lshlrev_b64 v[1:2], 4, v[7:8]
	s_add_u32 s6, s12, s6
	s_mov_b32 s46, s15
	s_addc_u32 s7, s13, s7
	v_mov_b32_e32 v0, s7
	v_add_co_u32_e32 v1, vcc, s6, v1
	s_lshl_b64 s[58:59], s[46:47], 4
	s_lshl_b64 s[60:61], s[36:37], 4
	v_addc_co_u32_e32 v0, vcc, v0, v2, vcc
	s_sub_u32 s37, 0, s58
	v_add_co_u32_e32 v8, vcc, 8, v1
	s_subb_u32 s52, 0, s59
	v_writelane_b32 v63, s16, 8
	v_addc_co_u32_e32 v58, vcc, 0, v0, vcc
	s_add_u32 s53, s67, -8
	s_mov_b32 s64, 0
	s_mov_b32 s84, 0x667f3bcd
                                        ; implicit-def: $vgpr0
	v_cmp_gt_i32_e64 s[2:3], s10, v7
	v_writelane_b32 v63, s17, 9
	s_addc_u32 s26, s4, -1
	s_mov_b32 s63, 0
	s_brev_b32 s65, 8
	v_mov_b32_e32 v59, 0x260
	s_mov_b32 s85, 0x3ff6a09e
	v_mov_b32_e32 v60, 0x100
	v_mov_b32_e32 v61, 0xffffff80
                                        ; kill: killed $vgpr0
                                        ; implicit-def: $vgpr0_vgpr1
                                        ; implicit-def: $vgpr2
                                        ; implicit-def: $vgpr21_vgpr22
                                        ; implicit-def: $vgpr23_vgpr24
                                        ; implicit-def: $vgpr25_vgpr26
                                        ; implicit-def: $vgpr13_vgpr14
                                        ; implicit-def: $vgpr62
                                        ; implicit-def: $vgpr19_vgpr20
                                        ; kill: killed $vgpr0_vgpr1
                                        ; implicit-def: $vgpr0_vgpr1
                                        ; kill: killed $vgpr0_vgpr1
	s_branch .LBB22_7
.LBB22_4:                               ;   in Loop: Header=BB22_7 Depth=1
	s_or_b64 exec, exec, s[6:7]
.LBB22_5:                               ;   in Loop: Header=BB22_7 Depth=1
	s_waitcnt vmcnt(0)
	s_barrier
.LBB22_6:                               ;   in Loop: Header=BB22_7 Depth=1
	ds_read2_b32 v[0:1], v9 offset0:6 offset1:9
	s_waitcnt lgkmcnt(0)
	v_cmp_gt_i32_e32 vcc, s10, v0
	v_cmp_gt_i32_e64 s[6:7], s33, v1
	s_and_b64 s[6:7], vcc, s[6:7]
	s_andn2_b64 vcc, exec, s[6:7]
	v_readfirstlane_b32 s8, v0
	s_cbranch_vccnz .LBB22_223
.LBB22_7:                               ; =>This Loop Header: Depth=1
                                        ;     Child Loop BB22_15 Depth 2
                                        ;     Child Loop BB22_28 Depth 2
	;; [unrolled: 1-line block ×5, first 2 shown]
                                        ;       Child Loop BB22_61 Depth 3
                                        ;       Child Loop BB22_81 Depth 3
	;; [unrolled: 1-line block ×3, first 2 shown]
                                        ;         Child Loop BB22_129 Depth 4
                                        ;     Child Loop BB22_133 Depth 2
                                        ;       Child Loop BB22_139 Depth 3
                                        ;       Child Loop BB22_159 Depth 3
	;; [unrolled: 1-line block ×3, first 2 shown]
                                        ;         Child Loop BB22_207 Depth 4
                                        ;     Child Loop BB22_215 Depth 2
                                        ;     Child Loop BB22_222 Depth 2
	s_and_saveexec_b64 s[68:69], s[0:1]
	s_cbranch_execz .LBB22_31
; %bb.8:                                ;   in Loop: Header=BB22_7 Depth=1
	s_cmp_lt_i32 s8, 1
	s_cbranch_scc1 .LBB22_10
; %bb.9:                                ;   in Loop: Header=BB22_7 Depth=1
	s_mov_b32 s9, s63
	s_lshl_b64 s[6:7], s[8:9], 3
	s_add_u32 s6, s14, s6
	s_addc_u32 s7, s92, s7
	v_mov_b32_e32 v10, v9
	global_store_dwordx2 v9, v[9:10], s[6:7] offset:-8
.LBB22_10:                              ;   in Loop: Header=BB22_7 Depth=1
	s_mov_b64 s[70:71], -1
	s_mov_b64 s[74:75], 0
	s_cmp_lt_i32 s8, s40
	s_mov_b64 s[6:7], 0
	s_cbranch_scc1 .LBB22_12
; %bb.11:                               ;   in Loop: Header=BB22_7 Depth=1
	s_ashr_i32 s9, s8, 31
	s_mov_b64 s[70:71], 0
	s_mov_b64 s[6:7], -1
.LBB22_12:                              ;   in Loop: Header=BB22_7 Depth=1
	s_andn2_b64 vcc, exec, s[70:71]
	s_cbranch_vccnz .LBB22_17
; %bb.13:                               ;   in Loop: Header=BB22_7 Depth=1
	s_ashr_i32 s9, s8, 31
	s_lshl_b64 s[70:71], s[8:9], 3
	s_add_u32 s76, s14, s70
	s_addc_u32 s77, s92, s71
	s_add_u32 s74, s5, s70
	s_addc_u32 s75, s54, s71
	s_mov_b64 s[78:79], s[8:9]
	s_branch .LBB22_15
.LBB22_14:                              ;   in Loop: Header=BB22_15 Depth=2
	s_andn2_b64 vcc, exec, s[82:83]
	s_cbranch_vccz .LBB22_18
.LBB22_15:                              ;   Parent Loop BB22_7 Depth=1
                                        ; =>  This Inner Loop Header: Depth=2
	s_nop 0
	global_load_dwordx2 v[21:22], v9, s[76:77]
	global_load_dwordx4 v[2:5], v9, s[74:75] offset:-8
	s_mov_b64 s[70:71], s[76:77]
	s_mov_b64 s[72:73], s[78:79]
	s_mov_b64 s[80:81], -1
	s_mov_b64 s[82:83], -1
                                        ; implicit-def: $sgpr78_sgpr79
	s_waitcnt vmcnt(0)
	v_cmp_lt_f64_e64 s[76:77], |v[2:3]|, s[64:65]
	s_and_b64 s[76:77], s[76:77], exec
	s_cselect_b32 s16, 0x100, 0
	v_ldexp_f64 v[2:3], |v[2:3]|, s16
	v_cmp_lt_f64_e64 s[76:77], |v[4:5]|, s[64:65]
	s_cselect_b32 s16, 0xffffff80, 0
	v_rsq_f64_e32 v[23:24], v[2:3]
	s_and_b64 s[76:77], s[76:77], exec
	v_cmp_class_f64_e32 vcc, v[2:3], v59
	v_mul_f64 v[25:26], v[2:3], v[23:24]
	v_mul_f64 v[23:24], v[23:24], 0.5
	v_fma_f64 v[27:28], -v[23:24], v[25:26], 0.5
	v_fma_f64 v[25:26], v[25:26], v[27:28], v[25:26]
	v_fma_f64 v[23:24], v[23:24], v[27:28], v[23:24]
	v_fma_f64 v[29:30], -v[25:26], v[25:26], v[2:3]
	v_fma_f64 v[25:26], v[29:30], v[23:24], v[25:26]
	v_fma_f64 v[27:28], -v[25:26], v[25:26], v[2:3]
	v_fma_f64 v[23:24], v[27:28], v[23:24], v[25:26]
	v_ldexp_f64 v[23:24], v[23:24], s16
	s_cselect_b32 s16, 0x100, 0
	v_ldexp_f64 v[4:5], |v[4:5]|, s16
	s_cselect_b32 s16, 0xffffff80, 0
	v_cndmask_b32_e32 v3, v24, v3, vcc
	v_cndmask_b32_e32 v2, v23, v2, vcc
	v_rsq_f64_e32 v[23:24], v[4:5]
	v_cmp_class_f64_e32 vcc, v[4:5], v59
	v_mul_f64 v[25:26], v[4:5], v[23:24]
	v_mul_f64 v[23:24], v[23:24], 0.5
	v_fma_f64 v[27:28], -v[23:24], v[25:26], 0.5
	v_fma_f64 v[25:26], v[25:26], v[27:28], v[25:26]
	v_fma_f64 v[23:24], v[23:24], v[27:28], v[23:24]
	v_fma_f64 v[29:30], -v[25:26], v[25:26], v[4:5]
	v_fma_f64 v[25:26], v[29:30], v[23:24], v[25:26]
	v_fma_f64 v[27:28], -v[25:26], v[25:26], v[4:5]
	v_fma_f64 v[23:24], v[27:28], v[23:24], v[25:26]
	v_ldexp_f64 v[23:24], v[23:24], s16
	v_cndmask_b32_e32 v5, v24, v5, vcc
	v_cndmask_b32_e32 v4, v23, v4, vcc
	v_mul_f64 v[2:3], v[2:3], v[4:5]
	v_mul_f64 v[2:3], s[28:29], v[2:3]
	v_cmp_nle_f64_e64 s[76:77], |v[21:22]|, v[2:3]
	s_and_b64 vcc, exec, s[76:77]
                                        ; implicit-def: $sgpr76_sgpr77
	s_cbranch_vccz .LBB22_14
; %bb.16:                               ;   in Loop: Header=BB22_15 Depth=2
	s_add_u32 s78, s72, 1
	s_addc_u32 s79, s73, 0
	s_add_u32 s76, s70, 8
	s_addc_u32 s77, s71, 0
	s_add_u32 s74, s74, 8
	s_addc_u32 s75, s75, 0
	s_cmp_ge_i32 s78, s40
	s_mov_b64 s[80:81], 0
	s_cselect_b64 s[82:83], -1, 0
	s_branch .LBB22_14
.LBB22_17:                              ;   in Loop: Header=BB22_7 Depth=1
	s_mov_b32 s27, s8
	s_mov_b64 s[76:77], s[8:9]
	s_and_b64 vcc, exec, s[6:7]
	s_cbranch_vccnz .LBB22_21
	s_branch .LBB22_22
.LBB22_18:                              ;   in Loop: Header=BB22_7 Depth=1
	s_xor_b64 s[16:17], s[80:81], -1
	s_mov_b64 s[74:75], -1
	s_and_b64 vcc, exec, s[16:17]
                                        ; implicit-def: $sgpr76_sgpr77
	s_cbranch_vccz .LBB22_20
; %bb.19:                               ;   in Loop: Header=BB22_7 Depth=1
	s_ashr_i32 s41, s40, 31
	s_mov_b64 s[6:7], -1
	s_mov_b64 s[74:75], 0
	s_mov_b64 s[76:77], s[40:41]
.LBB22_20:                              ;   in Loop: Header=BB22_7 Depth=1
	v_mov_b32_e32 v21, s72
	v_mov_b32_e32 v23, s70
	v_mov_b32_e32 v26, s9
	v_mov_b32_e32 v2, s72
	v_mov_b32_e32 v22, s73
	v_mov_b32_e32 v24, s71
	v_mov_b32_e32 v25, s8
	s_mov_b32 s27, s40
	s_and_b64 vcc, exec, s[6:7]
	s_cbranch_vccz .LBB22_22
.LBB22_21:                              ;   in Loop: Header=BB22_7 Depth=1
	v_mov_b32_e32 v0, s27
	ds_write_b32 v9, v0 offset:20
.LBB22_22:                              ;   in Loop: Header=BB22_7 Depth=1
	v_mov_b32_e32 v3, s8
	v_mov_b32_e32 v5, s76
	s_andn2_b64 vcc, exec, s[74:75]
	v_mov_b32_e32 v4, s9
	v_mov_b32_e32 v6, s77
	v_mov_b32_e32 v10, s27
	s_cbranch_vccnz .LBB22_24
; %bb.23:                               ;   in Loop: Header=BB22_7 Depth=1
	v_mov_b32_e32 v10, v9
	v_mov_b32_e32 v3, v25
	;; [unrolled: 1-line block ×3, first 2 shown]
	global_store_dwordx2 v[23:24], v[9:10], off
	v_mov_b32_e32 v4, v26
	v_mov_b32_e32 v6, v22
	;; [unrolled: 1-line block ×3, first 2 shown]
	ds_write_b32 v9, v2 offset:20
.LBB22_24:                              ;   in Loop: Header=BB22_7 Depth=1
	v_lshlrev_b64 v[5:6], 3, v[5:6]
	v_mov_b32_e32 v0, s23
	v_add_co_u32_e32 v5, vcc, s22, v5
	v_lshlrev_b64 v[27:28], 3, v[3:4]
	v_addc_co_u32_e32 v6, vcc, v0, v6, vcc
	v_add_co_u32_e32 v29, vcc, s22, v27
	v_addc_co_u32_e32 v30, vcc, v0, v28, vcc
	global_load_dwordx2 v[3:4], v[5:6], off
	s_nop 0
	global_load_dwordx2 v[5:6], v[29:30], off
	s_waitcnt vmcnt(0)
	v_cmp_lt_f64_e64 s[70:71], |v[3:4]|, |v[5:6]|
	v_mov_b32_e32 v6, s8
	v_add_u32_e32 v5, 1, v10
	ds_write_b32 v9, v6 offset:16
	ds_write2_b32 v9, v10, v10 offset0:8 offset1:10
	ds_write_b64 v9, v[5:6] offset:24
	s_and_saveexec_b64 s[6:7], s[70:71]
; %bb.25:                               ;   in Loop: Header=BB22_7 Depth=1
	v_mov_b32_e32 v0, s8
	ds_write2_b32 v9, v10, v0 offset0:4 offset1:8
; %bb.26:                               ;   in Loop: Header=BB22_7 Depth=1
	s_or_b64 exec, exec, s[6:7]
	v_and_b32_e32 v4, 0x7fffffff, v4
	v_cmp_lt_i32_e32 vcc, s8, v10
	s_and_saveexec_b64 s[70:71], vcc
	s_cbranch_execz .LBB22_30
; %bb.27:                               ;   in Loop: Header=BB22_7 Depth=1
	v_mov_b32_e32 v0, s4
	v_add_co_u32_e32 v5, vcc, s67, v27
	v_addc_co_u32_e32 v6, vcc, v0, v28, vcc
	v_mov_b32_e32 v0, s92
	v_add_co_u32_e32 v27, vcc, s14, v27
	v_addc_co_u32_e32 v28, vcc, v0, v28, vcc
	s_mov_b64 s[72:73], 0
.LBB22_28:                              ;   Parent Loop BB22_7 Depth=1
                                        ; =>  This Inner Loop Header: Depth=2
	global_load_dwordx2 v[29:30], v[27:28], off
	global_load_dwordx2 v[31:32], v[5:6], off
	v_max_f64 v[3:4], v[3:4], v[3:4]
	v_add_co_u32_e32 v5, vcc, 8, v5
	s_add_i32 s8, s8, 1
	v_addc_co_u32_e32 v6, vcc, 0, v6, vcc
	v_add_co_u32_e32 v27, vcc, 8, v27
	v_cmp_ge_i32_e64 s[6:7], s8, v10
	s_or_b64 s[72:73], s[6:7], s[72:73]
	v_addc_co_u32_e32 v28, vcc, 0, v28, vcc
	s_waitcnt vmcnt(1)
	v_max_f64 v[29:30], |v[29:30]|, |v[29:30]|
	s_waitcnt vmcnt(0)
	v_max_f64 v[31:32], |v[31:32]|, |v[31:32]|
	v_max_f64 v[29:30], v[31:32], v[29:30]
	v_max_f64 v[3:4], v[3:4], v[29:30]
	s_andn2_b64 exec, exec, s[72:73]
	s_cbranch_execnz .LBB22_28
; %bb.29:                               ;   in Loop: Header=BB22_7 Depth=1
	s_or_b64 exec, exec, s[72:73]
.LBB22_30:                              ;   in Loop: Header=BB22_7 Depth=1
	s_or_b64 exec, exec, s[70:71]
	ds_write_b64 v9, v[3:4] offset:8
.LBB22_31:                              ;   in Loop: Header=BB22_7 Depth=1
	s_or_b64 exec, exec, s[68:69]
	s_waitcnt lgkmcnt(0)
	s_barrier
	ds_read_b64 v[3:4], v9 offset:8
	ds_read2_b32 v[5:6], v9 offset0:4 offset1:8
	s_waitcnt lgkmcnt(1)
	v_cmp_eq_f64_e32 vcc, 0, v[3:4]
	s_waitcnt lgkmcnt(0)
	v_cmp_eq_u32_e64 s[6:7], v6, v5
	s_or_b64 s[6:7], s[6:7], vcc
	s_and_b64 vcc, exec, s[6:7]
	s_cbranch_vccnz .LBB22_6
; %bb.32:                               ;   in Loop: Header=BB22_7 Depth=1
	v_cmp_nlt_f64_e32 vcc, s[44:45], v[3:4]
	s_mov_b64 s[6:7], -1
	s_cbranch_vccz .LBB22_41
; %bb.33:                               ;   in Loop: Header=BB22_7 Depth=1
	v_cmp_ngt_f64_e32 vcc, s[30:31], v[3:4]
	s_cbranch_vccnz .LBB22_40
; %bb.34:                               ;   in Loop: Header=BB22_7 Depth=1
	v_div_scale_f64 v[5:6], s[6:7], s[30:31], s[30:31], v[3:4]
	v_div_scale_f64 v[31:32], vcc, v[3:4], s[30:31], v[3:4]
	v_rcp_f64_e32 v[27:28], v[5:6]
	v_fma_f64 v[29:30], -v[5:6], v[27:28], 1.0
	v_fma_f64 v[27:28], v[27:28], v[29:30], v[27:28]
	v_fma_f64 v[29:30], -v[5:6], v[27:28], 1.0
	v_fma_f64 v[27:28], v[27:28], v[29:30], v[27:28]
	v_mul_f64 v[29:30], v[31:32], v[27:28]
	v_fma_f64 v[5:6], -v[5:6], v[29:30], v[31:32]
	v_div_fmas_f64 v[5:6], v[5:6], v[27:28], v[29:30]
	ds_read2_b32 v[27:28], v9 offset0:7 offset1:10
	v_div_fixup_f64 v[5:6], v[5:6], s[30:31], v[3:4]
	s_and_saveexec_b64 s[6:7], s[0:1]
	s_cbranch_execz .LBB22_36
; %bb.35:                               ;   in Loop: Header=BB22_7 Depth=1
	s_waitcnt lgkmcnt(0)
	v_ashrrev_i32_e32 v30, 31, v28
	v_mov_b32_e32 v29, v28
	v_lshlrev_b64 v[29:30], 3, v[29:30]
	v_mov_b32_e32 v0, s23
	v_add_co_u32_e32 v29, vcc, s22, v29
	v_addc_co_u32_e32 v30, vcc, v0, v30, vcc
	global_load_dwordx2 v[31:32], v[29:30], off
	s_waitcnt vmcnt(0)
	v_mul_f64 v[31:32], v[5:6], v[31:32]
	global_store_dwordx2 v[29:30], v[31:32], off
.LBB22_36:                              ;   in Loop: Header=BB22_7 Depth=1
	s_or_b64 exec, exec, s[6:7]
	s_waitcnt lgkmcnt(0)
	v_add_u32_e32 v29, v27, v7
	v_cmp_lt_i32_e32 vcc, v29, v28
	s_and_saveexec_b64 s[6:7], vcc
	s_cbranch_execz .LBB22_39
; %bb.37:                               ;   in Loop: Header=BB22_7 Depth=1
	v_ashrrev_i32_e32 v30, 31, v29
	v_lshlrev_b64 v[30:31], 3, v[29:30]
	s_mov_b64 s[8:9], 0
.LBB22_38:                              ;   Parent Loop BB22_7 Depth=1
                                        ; =>  This Inner Loop Header: Depth=2
	v_mov_b32_e32 v0, s23
	v_add_co_u32_e32 v32, vcc, s22, v30
	v_addc_co_u32_e32 v33, vcc, v0, v31, vcc
	global_load_dwordx2 v[34:35], v[32:33], off
	v_mov_b32_e32 v0, s92
	v_add_co_u32_e32 v36, vcc, s14, v30
	v_addc_co_u32_e32 v37, vcc, v0, v31, vcc
	v_mov_b32_e32 v0, s49
	v_add_co_u32_e32 v30, vcc, s48, v30
	v_add_u32_e32 v29, s36, v29
	v_addc_co_u32_e32 v31, vcc, v31, v0, vcc
	v_cmp_ge_i32_e32 vcc, v29, v28
	s_or_b64 s[8:9], vcc, s[8:9]
	s_waitcnt vmcnt(0)
	v_mul_f64 v[34:35], v[5:6], v[34:35]
	global_store_dwordx2 v[32:33], v[34:35], off
	global_load_dwordx2 v[32:33], v[36:37], off
	s_waitcnt vmcnt(0)
	v_mul_f64 v[32:33], v[5:6], v[32:33]
	global_store_dwordx2 v[36:37], v[32:33], off
	s_andn2_b64 exec, exec, s[8:9]
	s_cbranch_execnz .LBB22_38
.LBB22_39:                              ;   in Loop: Header=BB22_7 Depth=1
	s_or_b64 exec, exec, s[6:7]
.LBB22_40:                              ;   in Loop: Header=BB22_7 Depth=1
	s_mov_b64 s[6:7], 0
.LBB22_41:                              ;   in Loop: Header=BB22_7 Depth=1
	s_andn2_b64 vcc, exec, s[6:7]
	s_cbranch_vccnz .LBB22_48
; %bb.42:                               ;   in Loop: Header=BB22_7 Depth=1
	v_div_scale_f64 v[5:6], s[6:7], s[44:45], s[44:45], v[3:4]
	v_div_scale_f64 v[31:32], vcc, v[3:4], s[44:45], v[3:4]
	v_rcp_f64_e32 v[27:28], v[5:6]
	v_fma_f64 v[29:30], -v[5:6], v[27:28], 1.0
	v_fma_f64 v[27:28], v[27:28], v[29:30], v[27:28]
	v_fma_f64 v[29:30], -v[5:6], v[27:28], 1.0
	v_fma_f64 v[27:28], v[27:28], v[29:30], v[27:28]
	v_mul_f64 v[29:30], v[31:32], v[27:28]
	v_fma_f64 v[5:6], -v[5:6], v[29:30], v[31:32]
	v_div_fmas_f64 v[5:6], v[5:6], v[27:28], v[29:30]
	v_div_fixup_f64 v[3:4], v[5:6], s[44:45], v[3:4]
	ds_read2_b32 v[5:6], v9 offset0:7 offset1:10
	s_and_saveexec_b64 s[6:7], s[0:1]
	s_cbranch_execz .LBB22_44
; %bb.43:                               ;   in Loop: Header=BB22_7 Depth=1
	s_waitcnt lgkmcnt(0)
	v_ashrrev_i32_e32 v28, 31, v6
	v_mov_b32_e32 v27, v6
	v_lshlrev_b64 v[27:28], 3, v[27:28]
	v_mov_b32_e32 v0, s23
	v_add_co_u32_e32 v27, vcc, s22, v27
	v_addc_co_u32_e32 v28, vcc, v0, v28, vcc
	global_load_dwordx2 v[29:30], v[27:28], off
	s_waitcnt vmcnt(0)
	v_mul_f64 v[29:30], v[3:4], v[29:30]
	global_store_dwordx2 v[27:28], v[29:30], off
.LBB22_44:                              ;   in Loop: Header=BB22_7 Depth=1
	s_or_b64 exec, exec, s[6:7]
	s_waitcnt lgkmcnt(0)
	v_add_u32_e32 v27, v5, v7
	v_cmp_lt_i32_e32 vcc, v27, v6
	s_and_saveexec_b64 s[6:7], vcc
	s_cbranch_execz .LBB22_47
; %bb.45:                               ;   in Loop: Header=BB22_7 Depth=1
	v_ashrrev_i32_e32 v28, 31, v27
	v_lshlrev_b64 v[28:29], 3, v[27:28]
	s_mov_b64 s[8:9], 0
.LBB22_46:                              ;   Parent Loop BB22_7 Depth=1
                                        ; =>  This Inner Loop Header: Depth=2
	v_mov_b32_e32 v0, s23
	v_add_co_u32_e32 v30, vcc, s22, v28
	v_addc_co_u32_e32 v31, vcc, v0, v29, vcc
	global_load_dwordx2 v[32:33], v[30:31], off
	v_mov_b32_e32 v0, s92
	v_add_co_u32_e32 v34, vcc, s14, v28
	v_addc_co_u32_e32 v35, vcc, v0, v29, vcc
	v_mov_b32_e32 v0, s49
	v_add_co_u32_e32 v28, vcc, s48, v28
	v_add_u32_e32 v27, s36, v27
	v_addc_co_u32_e32 v29, vcc, v29, v0, vcc
	v_cmp_ge_i32_e32 vcc, v27, v6
	s_or_b64 s[8:9], vcc, s[8:9]
	s_waitcnt vmcnt(0)
	v_mul_f64 v[32:33], v[3:4], v[32:33]
	global_store_dwordx2 v[30:31], v[32:33], off
	global_load_dwordx2 v[30:31], v[34:35], off
	s_waitcnt vmcnt(0)
	v_mul_f64 v[30:31], v[3:4], v[30:31]
	global_store_dwordx2 v[34:35], v[30:31], off
	s_andn2_b64 exec, exec, s[8:9]
	s_cbranch_execnz .LBB22_46
.LBB22_47:                              ;   in Loop: Header=BB22_7 Depth=1
	s_or_b64 exec, exec, s[6:7]
.LBB22_48:                              ;   in Loop: Header=BB22_7 Depth=1
	s_waitcnt vmcnt(0)
	s_barrier
	ds_read_b32 v27, v9 offset:16
	ds_read_b64 v[29:30], v9 offset:32
	s_mov_b64 s[8:9], -1
                                        ; implicit-def: $vgpr33_vgpr34
                                        ; implicit-def: $vgpr31_vgpr32
                                        ; implicit-def: $vgpr28
	s_waitcnt lgkmcnt(0)
	v_cmp_gt_i32_e64 s[6:7], s33, v30
	v_cmp_lt_i32_e32 vcc, v29, v27
	v_cndmask_b32_e64 v0, 0, 1, s[6:7]
	v_cmp_ne_u32_e64 s[6:7], 1, v0
	s_cbranch_vccnz .LBB22_51
; %bb.49:                               ;   in Loop: Header=BB22_7 Depth=1
	buffer_load_dword v33, off, s[96:99], 0 offset:12 ; 4-byte Folded Reload
	buffer_load_dword v34, off, s[96:99], 0 offset:16 ; 4-byte Folded Reload
	;; [unrolled: 1-line block ×4, first 2 shown]
	buffer_load_dword v28, off, s[96:99], 0 ; 4-byte Folded Reload
	s_and_b64 vcc, exec, s[6:7]
	v_mov_b32_e32 v40, v30
	v_mov_b32_e32 v39, v29
	;; [unrolled: 1-line block ×3, first 2 shown]
	s_cbranch_vccz .LBB22_55
.LBB22_50:                              ;   in Loop: Header=BB22_7 Depth=1
	s_mov_b64 s[8:9], 0
.LBB22_51:                              ;   in Loop: Header=BB22_7 Depth=1
	s_andn2_b64 vcc, exec, s[8:9]
	s_cbranch_vccnz .LBB22_209
; %bb.52:                               ;   in Loop: Header=BB22_7 Depth=1
	s_and_b64 vcc, exec, s[6:7]
	s_cbranch_vccz .LBB22_133
	s_branch .LBB22_210
.LBB22_53:                              ;   in Loop: Header=BB22_55 Depth=2
	s_or_b64 exec, exec, s[8:9]
	s_waitcnt vmcnt(0)
	s_barrier
	ds_read_b32 v35, v9 offset:16
.LBB22_54:                              ;   in Loop: Header=BB22_55 Depth=2
	ds_read_b64 v[39:40], v9 offset:32
	s_waitcnt lgkmcnt(0)
	v_cmp_le_i32_e32 vcc, v35, v39
	v_cmp_gt_i32_e64 s[8:9], s33, v40
	s_and_b64 s[8:9], vcc, s[8:9]
	s_andn2_b64 vcc, exec, s[8:9]
	s_cbranch_vccnz .LBB22_50
.LBB22_55:                              ;   Parent Loop BB22_7 Depth=1
                                        ; =>  This Loop Header: Depth=2
                                        ;       Child Loop BB22_61 Depth 3
                                        ;       Child Loop BB22_81 Depth 3
	;; [unrolled: 1-line block ×3, first 2 shown]
                                        ;         Child Loop BB22_129 Depth 4
	s_and_saveexec_b64 s[68:69], s[0:1]
	s_cbranch_execz .LBB22_124
; %bb.56:                               ;   in Loop: Header=BB22_55 Depth=2
	v_cmp_lt_i32_e32 vcc, v35, v39
	s_mov_b64 s[8:9], 0
	s_cbranch_vccnz .LBB22_58
; %bb.57:                               ;   in Loop: Header=BB22_55 Depth=2
	v_ashrrev_i32_e32 v36, 31, v35
	v_mov_b32_e32 v4, v35
	s_mov_b64 s[70:71], -1
	v_mov_b32_e32 v5, v36
	v_mov_b32_e32 v3, v35
	s_cbranch_execz .LBB22_59
	s_branch .LBB22_64
.LBB22_58:                              ;   in Loop: Header=BB22_55 Depth=2
                                        ; implicit-def: $vgpr4_vgpr5
	s_mov_b64 s[70:71], 0
	v_mov_b32_e32 v3, v35
.LBB22_59:                              ;   in Loop: Header=BB22_55 Depth=2
	v_ashrrev_i32_e32 v36, 31, v35
	v_lshlrev_b64 v[3:4], 3, v[35:36]
	v_mov_b32_e32 v0, s92
	v_add_co_u32_e32 v5, vcc, s14, v3
	v_addc_co_u32_e32 v6, vcc, v0, v4, vcc
	v_mov_b32_e32 v0, s4
	v_add_co_u32_e32 v3, vcc, s67, v3
	v_addc_co_u32_e32 v4, vcc, v0, v4, vcc
	v_mov_b32_e32 v10, v35
	s_branch .LBB22_61
.LBB22_60:                              ;   in Loop: Header=BB22_61 Depth=3
	v_add_co_u32_e32 v5, vcc, 8, v31
	v_addc_co_u32_e32 v6, vcc, 0, v32, vcc
	v_add_u32_e32 v10, 1, v28
	v_add_co_u32_e32 v3, vcc, 8, v3
	v_addc_co_u32_e32 v4, vcc, 0, v4, vcc
	s_mov_b64 s[8:9], 0
	v_cmp_ge_i32_e64 s[70:71], v10, v39
	s_andn2_b64 vcc, exec, s[70:71]
	s_cbranch_vccz .LBB22_63
.LBB22_61:                              ;   Parent Loop BB22_7 Depth=1
                                        ;     Parent Loop BB22_55 Depth=2
                                        ; =>    This Inner Loop Header: Depth=3
	global_load_dwordx4 v[41:44], v[3:4], off
	s_waitcnt vmcnt(2)
	v_mov_b32_e32 v32, v6
	v_mov_b32_e32 v31, v5
	global_load_dwordx2 v[5:6], v[5:6], off
	s_waitcnt vmcnt(2)
	v_mov_b32_e32 v28, v10
	s_waitcnt vmcnt(1)
	v_mul_f64 v[33:34], v[41:42], v[43:44]
	s_waitcnt vmcnt(0)
	v_mul_f64 v[5:6], v[5:6], v[5:6]
	v_mul_f64 v[33:34], v[11:12], |v[33:34]|
	v_cmp_le_f64_e64 s[8:9], |v[5:6]|, v[33:34]
	s_and_b64 vcc, exec, s[8:9]
	s_cbranch_vccz .LBB22_60
; %bb.62:                               ;   in Loop: Header=BB22_55 Depth=2
	s_mov_b64 s[8:9], -1
                                        ; implicit-def: $vgpr10
                                        ; implicit-def: $vgpr5_vgpr6
                                        ; implicit-def: $vgpr3_vgpr4
.LBB22_63:                              ;   in Loop: Header=BB22_55 Depth=2
	v_mov_b32_e32 v33, v35
	v_mov_b32_e32 v4, v35
	s_xor_b64 s[70:71], s[8:9], -1
	s_mov_b64 s[8:9], -1
	v_mov_b32_e32 v34, v36
	v_mov_b32_e32 v3, v39
	;; [unrolled: 1-line block ×3, first 2 shown]
.LBB22_64:                              ;   in Loop: Header=BB22_55 Depth=2
	s_and_b64 vcc, exec, s[70:71]
	s_cbranch_vccnz .LBB22_93
; %bb.65:                               ;   in Loop: Header=BB22_55 Depth=2
	s_andn2_b64 vcc, exec, s[8:9]
	s_cbranch_vccnz .LBB22_67
.LBB22_66:                              ;   in Loop: Header=BB22_55 Depth=2
	s_waitcnt vmcnt(3)
	v_mov_b32_e32 v4, v33
	v_mov_b32_e32 v10, v9
	;; [unrolled: 1-line block ×3, first 2 shown]
	s_waitcnt vmcnt(0)
	v_mov_b32_e32 v3, v28
	ds_write2_b32 v9, v28, v35 offset0:5 offset1:7
	global_store_dwordx2 v[31:32], v[9:10], off
.LBB22_67:                              ;   in Loop: Header=BB22_55 Depth=2
	v_lshlrev_b64 v[38:39], 3, v[4:5]
	v_mov_b32_e32 v0, s23
	v_add_co_u32_e32 v36, vcc, s22, v38
	v_addc_co_u32_e32 v37, vcc, v0, v39, vcc
	global_load_dwordx2 v[50:51], v[36:37], off
	v_cmp_ne_u32_e32 vcc, v3, v35
	v_add_u32_e32 v4, 1, v35
	s_waitcnt vmcnt(0)
	ds_write_b64 v9, v[50:51]
	s_and_saveexec_b64 s[8:9], vcc
	s_xor_b64 s[70:71], exec, s[8:9]
	s_cbranch_execz .LBB22_121
; %bb.68:                               ;   in Loop: Header=BB22_55 Depth=2
	v_cmp_ne_u32_e32 vcc, v3, v4
	s_and_saveexec_b64 s[8:9], vcc
	s_xor_b64 s[8:9], exec, s[8:9]
	s_cbranch_execz .LBB22_97
; %bb.69:                               ;   in Loop: Header=BB22_55 Depth=2
	v_mov_b32_e32 v0, s92
	v_add_co_u32_e32 v5, vcc, s14, v38
	v_addc_co_u32_e32 v6, vcc, v0, v39, vcc
	global_load_dwordx2 v[15:16], v[36:37], off offset:8
	global_load_dwordx2 v[38:39], v[5:6], off
	v_ashrrev_i32_e32 v4, 31, v3
	v_mov_b32_e32 v10, v9
	ds_write_b64 v9, v[9:10]
	s_waitcnt vmcnt(1)
	v_add_f64 v[15:16], v[15:16], -v[50:51]
	s_waitcnt vmcnt(0)
	v_add_f64 v[41:42], v[38:39], v[38:39]
	v_div_scale_f64 v[43:44], s[72:73], v[41:42], v[41:42], v[15:16]
	v_rcp_f64_e32 v[45:46], v[43:44]
	v_fma_f64 v[47:48], -v[43:44], v[45:46], 1.0
	v_fma_f64 v[45:46], v[45:46], v[47:48], v[45:46]
	v_div_scale_f64 v[47:48], vcc, v[15:16], v[41:42], v[15:16]
	v_fma_f64 v[52:53], -v[43:44], v[45:46], 1.0
	v_fma_f64 v[45:46], v[45:46], v[52:53], v[45:46]
	v_mul_f64 v[52:53], v[47:48], v[45:46]
	v_fma_f64 v[43:44], -v[43:44], v[52:53], v[47:48]
	v_div_fmas_f64 v[43:44], v[43:44], v[45:46], v[52:53]
	v_div_fixup_f64 v[15:16], v[43:44], v[41:42], v[15:16]
	v_fma_f64 v[41:42], v[15:16], v[15:16], 1.0
	v_cmp_gt_f64_e32 vcc, s[64:65], v[41:42]
	v_cndmask_b32_e32 v0, 0, v60, vcc
	v_ldexp_f64 v[41:42], v[41:42], v0
	v_cndmask_b32_e32 v0, 0, v61, vcc
	v_rsq_f64_e32 v[43:44], v[41:42]
	v_cmp_class_f64_e32 vcc, v[41:42], v59
	v_mul_f64 v[45:46], v[41:42], v[43:44]
	v_mul_f64 v[43:44], v[43:44], 0.5
	v_fma_f64 v[47:48], -v[43:44], v[45:46], 0.5
	v_fma_f64 v[45:46], v[45:46], v[47:48], v[45:46]
	v_fma_f64 v[43:44], v[43:44], v[47:48], v[43:44]
	v_fma_f64 v[47:48], -v[45:46], v[45:46], v[41:42]
	v_fma_f64 v[45:46], v[47:48], v[43:44], v[45:46]
	v_fma_f64 v[47:48], -v[45:46], v[45:46], v[41:42]
	v_fma_f64 v[43:44], v[47:48], v[43:44], v[45:46]
	v_ldexp_f64 v[43:44], v[43:44], v0
	v_cndmask_b32_e32 v0, v44, v42, vcc
	v_cndmask_b32_e32 v41, v43, v41, vcc
	v_cmp_nle_f64_e32 vcc, 0, v[15:16]
	v_and_b32_e32 v1, 0x7fffffff, v0
	v_or_b32_e32 v0, 0x80000000, v0
	v_lshlrev_b64 v[44:45], 3, v[3:4]
	v_cndmask_b32_e32 v42, v1, v0, vcc
	v_add_f64 v[15:16], v[15:16], v[41:42]
	v_mov_b32_e32 v0, s23
	v_add_co_u32_e32 v48, vcc, s22, v44
	v_addc_co_u32_e32 v49, vcc, v0, v45, vcc
	global_load_dwordx2 v[52:53], v[48:49], off
	v_add_u32_e32 v0, 1, v40
	v_div_scale_f64 v[41:42], s[72:73], v[15:16], v[15:16], v[38:39]
	v_div_scale_f64 v[56:57], vcc, v[38:39], v[15:16], v[38:39]
	ds_write_b32 v9, v0 offset:36
	v_rcp_f64_e32 v[46:47], v[41:42]
	v_fma_f64 v[54:55], -v[41:42], v[46:47], 1.0
	v_fma_f64 v[46:47], v[46:47], v[54:55], v[46:47]
	v_fma_f64 v[54:55], -v[41:42], v[46:47], 1.0
	v_fma_f64 v[46:47], v[46:47], v[54:55], v[46:47]
	v_mul_f64 v[54:55], v[56:57], v[46:47]
	v_fma_f64 v[41:42], -v[41:42], v[54:55], v[56:57]
	v_div_fmas_f64 v[41:42], v[41:42], v[46:47], v[54:55]
	s_waitcnt vmcnt(0)
	v_add_f64 v[46:47], v[52:53], -v[50:51]
	v_cmp_gt_i32_e32 vcc, v3, v35
	v_div_fixup_f64 v[15:16], v[41:42], v[15:16], v[38:39]
	v_mov_b32_e32 v40, 0
	v_mov_b32_e32 v41, 0
	v_add_f64 v[38:39], v[46:47], v[15:16]
	s_and_saveexec_b64 s[72:73], vcc
	s_cbranch_execz .LBB22_96
; %bb.70:                               ;   in Loop: Header=BB22_55 Depth=2
	v_mov_b32_e32 v0, s92
	v_add_co_u32_e32 v15, vcc, s14, v44
	v_addc_co_u32_e32 v16, vcc, v0, v45, vcc
	global_load_dwordx2 v[50:51], v[15:16], off offset:-8
	v_mov_b32_e32 v46, 0
	v_mov_b32_e32 v42, 0
	;; [unrolled: 1-line block ×4, first 2 shown]
	s_waitcnt vmcnt(0)
	v_cmp_neq_f64_e32 vcc, 0, v[50:51]
	s_and_saveexec_b64 s[74:75], vcc
	s_cbranch_execz .LBB22_78
; %bb.71:                               ;   in Loop: Header=BB22_55 Depth=2
	v_cmp_neq_f64_e32 vcc, 0, v[38:39]
	v_mov_b32_e32 v42, 0
	v_mov_b32_e32 v46, 0
	;; [unrolled: 1-line block ×4, first 2 shown]
	s_and_saveexec_b64 s[76:77], vcc
	s_cbranch_execz .LBB22_77
; %bb.72:                               ;   in Loop: Header=BB22_55 Depth=2
	v_cmp_ngt_f64_e64 s[78:79], |v[50:51]|, |v[38:39]|
                                        ; implicit-def: $vgpr46_vgpr47
                                        ; implicit-def: $vgpr42_vgpr43
	s_and_saveexec_b64 s[80:81], s[78:79]
	s_xor_b64 s[78:79], exec, s[80:81]
	s_cbranch_execz .LBB22_74
; %bb.73:                               ;   in Loop: Header=BB22_55 Depth=2
	v_div_scale_f64 v[15:16], s[80:81], v[38:39], v[38:39], -v[50:51]
	v_rcp_f64_e32 v[40:41], v[15:16]
	v_fma_f64 v[42:43], -v[15:16], v[40:41], 1.0
	v_fma_f64 v[40:41], v[40:41], v[42:43], v[40:41]
	v_div_scale_f64 v[42:43], vcc, -v[50:51], v[38:39], -v[50:51]
	v_fma_f64 v[46:47], -v[15:16], v[40:41], 1.0
	v_fma_f64 v[40:41], v[40:41], v[46:47], v[40:41]
	v_mul_f64 v[46:47], v[42:43], v[40:41]
	v_fma_f64 v[15:16], -v[15:16], v[46:47], v[42:43]
	v_div_fmas_f64 v[15:16], v[15:16], v[40:41], v[46:47]
	v_div_fixup_f64 v[15:16], v[15:16], v[38:39], -v[50:51]
	v_fma_f64 v[38:39], v[15:16], v[15:16], 1.0
	v_cmp_gt_f64_e32 vcc, s[64:65], v[38:39]
	v_cndmask_b32_e32 v0, 0, v60, vcc
	v_ldexp_f64 v[38:39], v[38:39], v0
	v_cndmask_b32_e32 v0, 0, v61, vcc
	v_rsq_f64_e32 v[40:41], v[38:39]
	v_cmp_class_f64_e32 vcc, v[38:39], v59
	v_mul_f64 v[42:43], v[38:39], v[40:41]
	v_mul_f64 v[40:41], v[40:41], 0.5
	v_fma_f64 v[46:47], -v[40:41], v[42:43], 0.5
	v_fma_f64 v[42:43], v[42:43], v[46:47], v[42:43]
	v_fma_f64 v[40:41], v[40:41], v[46:47], v[40:41]
	v_fma_f64 v[46:47], -v[42:43], v[42:43], v[38:39]
	v_fma_f64 v[42:43], v[46:47], v[40:41], v[42:43]
	v_fma_f64 v[46:47], -v[42:43], v[42:43], v[38:39]
	v_fma_f64 v[40:41], v[46:47], v[40:41], v[42:43]
	v_ldexp_f64 v[40:41], v[40:41], v0
	v_cndmask_b32_e32 v39, v41, v39, vcc
	v_cndmask_b32_e32 v38, v40, v38, vcc
	v_div_scale_f64 v[40:41], s[80:81], v[38:39], v[38:39], 1.0
	v_div_scale_f64 v[54:55], vcc, 1.0, v[38:39], 1.0
	v_rcp_f64_e32 v[42:43], v[40:41]
	v_fma_f64 v[46:47], -v[40:41], v[42:43], 1.0
	v_fma_f64 v[42:43], v[42:43], v[46:47], v[42:43]
	v_fma_f64 v[46:47], -v[40:41], v[42:43], 1.0
	v_fma_f64 v[42:43], v[42:43], v[46:47], v[42:43]
	v_mul_f64 v[46:47], v[54:55], v[42:43]
	v_fma_f64 v[40:41], -v[40:41], v[46:47], v[54:55]
	v_div_fmas_f64 v[40:41], v[40:41], v[42:43], v[46:47]
	v_div_fixup_f64 v[42:43], v[40:41], v[38:39], 1.0
                                        ; implicit-def: $vgpr38_vgpr39
	v_mul_f64 v[46:47], v[15:16], v[42:43]
.LBB22_74:                              ;   in Loop: Header=BB22_55 Depth=2
	s_andn2_saveexec_b64 s[78:79], s[78:79]
	s_cbranch_execz .LBB22_76
; %bb.75:                               ;   in Loop: Header=BB22_55 Depth=2
	v_div_scale_f64 v[15:16], s[80:81], v[50:51], v[50:51], -v[38:39]
	v_rcp_f64_e32 v[40:41], v[15:16]
	v_fma_f64 v[42:43], -v[15:16], v[40:41], 1.0
	v_fma_f64 v[40:41], v[40:41], v[42:43], v[40:41]
	v_div_scale_f64 v[42:43], vcc, -v[38:39], v[50:51], -v[38:39]
	v_fma_f64 v[46:47], -v[15:16], v[40:41], 1.0
	v_fma_f64 v[40:41], v[40:41], v[46:47], v[40:41]
	v_mul_f64 v[46:47], v[42:43], v[40:41]
	v_fma_f64 v[15:16], -v[15:16], v[46:47], v[42:43]
	v_div_fmas_f64 v[15:16], v[15:16], v[40:41], v[46:47]
	v_div_fixup_f64 v[15:16], v[15:16], v[50:51], -v[38:39]
	v_fma_f64 v[38:39], v[15:16], v[15:16], 1.0
	v_cmp_gt_f64_e32 vcc, s[64:65], v[38:39]
	v_cndmask_b32_e32 v0, 0, v60, vcc
	v_ldexp_f64 v[38:39], v[38:39], v0
	v_cndmask_b32_e32 v0, 0, v61, vcc
	v_rsq_f64_e32 v[40:41], v[38:39]
	v_cmp_class_f64_e32 vcc, v[38:39], v59
	v_mul_f64 v[42:43], v[38:39], v[40:41]
	v_mul_f64 v[40:41], v[40:41], 0.5
	v_fma_f64 v[46:47], -v[40:41], v[42:43], 0.5
	v_fma_f64 v[42:43], v[42:43], v[46:47], v[42:43]
	v_fma_f64 v[40:41], v[40:41], v[46:47], v[40:41]
	v_fma_f64 v[46:47], -v[42:43], v[42:43], v[38:39]
	v_fma_f64 v[42:43], v[46:47], v[40:41], v[42:43]
	v_fma_f64 v[46:47], -v[42:43], v[42:43], v[38:39]
	v_fma_f64 v[40:41], v[46:47], v[40:41], v[42:43]
	v_ldexp_f64 v[40:41], v[40:41], v0
	v_cndmask_b32_e32 v39, v41, v39, vcc
	v_cndmask_b32_e32 v38, v40, v38, vcc
	v_div_scale_f64 v[40:41], s[80:81], v[38:39], v[38:39], 1.0
	v_div_scale_f64 v[54:55], vcc, 1.0, v[38:39], 1.0
	v_rcp_f64_e32 v[42:43], v[40:41]
	v_fma_f64 v[46:47], -v[40:41], v[42:43], 1.0
	v_fma_f64 v[42:43], v[42:43], v[46:47], v[42:43]
	v_fma_f64 v[46:47], -v[40:41], v[42:43], 1.0
	v_fma_f64 v[42:43], v[42:43], v[46:47], v[42:43]
	v_mul_f64 v[46:47], v[54:55], v[42:43]
	v_fma_f64 v[40:41], -v[40:41], v[46:47], v[54:55]
	v_div_fmas_f64 v[40:41], v[40:41], v[42:43], v[46:47]
	v_div_fixup_f64 v[46:47], v[40:41], v[38:39], 1.0
	v_mul_f64 v[42:43], v[15:16], v[46:47]
.LBB22_76:                              ;   in Loop: Header=BB22_55 Depth=2
	s_or_b64 exec, exec, s[78:79]
.LBB22_77:                              ;   in Loop: Header=BB22_55 Depth=2
	s_or_b64 exec, exec, s[76:77]
.LBB22_78:                              ;   in Loop: Header=BB22_55 Depth=2
	s_or_b64 exec, exec, s[74:75]
	global_load_dwordx2 v[15:16], v[48:49], off offset:-8
	v_add_f64 v[38:39], v[42:43], v[42:43]
	v_mov_b32_e32 v0, s66
	v_add_u32_e32 v54, -1, v3
	s_waitcnt vmcnt(0)
	v_add_f64 v[15:16], v[15:16], -v[52:53]
	v_mul_f64 v[15:16], v[46:47], v[15:16]
	v_fma_f64 v[15:16], v[50:51], v[38:39], -v[15:16]
	v_fma_f64 v[38:39], v[15:16], -v[46:47], v[52:53]
	v_mul_f64 v[40:41], v[15:16], -v[46:47]
	global_store_dwordx2 v[48:49], v[38:39], off
	v_fma_f64 v[38:39], v[42:43], v[15:16], -v[50:51]
	v_add_co_u32_e32 v15, vcc, s95, v44
	v_addc_co_u32_e32 v16, vcc, v0, v45, vcc
	v_add_co_u32_e32 v0, vcc, -8, v15
	v_addc_co_u32_e32 v1, vcc, -1, v16, vcc
	global_store_dwordx2 v[15:16], v[42:43], off offset:-8
	v_add_co_u32_e32 v15, vcc, s50, v0
	v_mov_b32_e32 v0, s51
	v_addc_co_u32_e32 v16, vcc, v1, v0, vcc
	v_cmp_gt_i32_e32 vcc, v54, v35
	ds_write_b64 v9, v[40:41]
	global_store_dwordx2 v[15:16], v[46:47], off offset:-8
	s_and_saveexec_b64 s[74:75], vcc
	s_cbranch_execz .LBB22_95
; %bb.79:                               ;   in Loop: Header=BB22_55 Depth=2
	v_ashrrev_i32_e32 v55, 31, v54
	v_lshlrev_b64 v[44:45], 3, v[54:55]
	v_readlane_b32 s82, v63, 8
	v_readlane_b32 s84, v63, 6
	v_xor_b32_e32 v47, 0x80000000, v47
	s_mov_b32 s27, -1
	s_mov_b64 s[76:77], 0
	s_mov_b64 s[78:79], s[56:57]
	s_mov_b64 s[80:81], s[22:23]
	v_readlane_b32 s83, v63, 9
	v_readlane_b32 s85, v63, 7
	s_branch .LBB22_81
.LBB22_80:                              ;   in Loop: Header=BB22_81 Depth=3
	v_add_co_u32_e32 v15, vcc, s80, v44
	v_mov_b32_e32 v4, s81
	v_addc_co_u32_e32 v16, vcc, v4, v45, vcc
	v_mul_f64 v[0:1], v[42:43], v[52:53]
	global_load_dwordx4 v[50:53], v[15:16], off offset:-8
	v_mov_b32_e32 v42, v48
	v_xor_b32_e32 v47, 0x80000000, v55
	v_mov_b32_e32 v46, v54
	v_mov_b32_e32 v43, v49
	s_waitcnt vmcnt(0)
	v_add_f64 v[17:18], v[52:53], -v[40:41]
	v_add_f64 v[40:41], v[48:49], v[48:49]
	v_add_f64 v[38:39], v[50:51], -v[17:18]
	v_mul_f64 v[38:39], v[54:55], v[38:39]
	v_fma_f64 v[38:39], v[0:1], v[40:41], -v[38:39]
	v_fma_f64 v[17:18], v[38:39], -v[54:55], v[17:18]
	v_mul_f64 v[40:41], v[38:39], -v[54:55]
	v_fma_f64 v[38:39], v[48:49], v[38:39], -v[0:1]
	v_add_co_u32_e32 v0, vcc, s82, v44
	v_mov_b32_e32 v1, s83
	v_addc_co_u32_e32 v1, vcc, v1, v45, vcc
	global_store_dwordx2 v[15:16], v[17:18], off
	global_store_dwordx2 v[0:1], v[48:49], off
	v_add_co_u32_e32 v0, vcc, s84, v44
	s_add_u32 s84, s84, -8
	v_mov_b32_e32 v1, s85
	s_addc_u32 s85, s85, -1
	s_add_u32 s82, s82, -8
	s_addc_u32 s83, s83, -1
	s_add_i32 s27, s27, -1
	s_add_u32 s80, s80, -8
	v_addc_co_u32_e32 v1, vcc, v1, v45, vcc
	s_addc_u32 s81, s81, -1
	global_store_dwordx2 v[0:1], v[54:55], off
	v_add_u32_e32 v0, s27, v3
	s_add_u32 s78, s78, -8
	s_addc_u32 s79, s79, -1
	v_cmp_le_i32_e32 vcc, v0, v35
	s_or_b64 s[76:77], vcc, s[76:77]
	s_andn2_b64 exec, exec, s[76:77]
	s_cbranch_execz .LBB22_94
.LBB22_81:                              ;   Parent Loop BB22_7 Depth=1
                                        ;     Parent Loop BB22_55 Depth=2
                                        ; =>    This Inner Loop Header: Depth=3
	v_mov_b32_e32 v0, s79
	v_add_co_u32_e32 v50, vcc, s78, v44
	v_addc_co_u32_e32 v51, vcc, v0, v45, vcc
	global_load_dwordx2 v[52:53], v[50:51], off
	v_mov_b32_e32 v54, 0
	v_mov_b32_e32 v48, 0
	;; [unrolled: 1-line block ×4, first 2 shown]
	s_waitcnt vmcnt(0)
	v_mul_f64 v[46:47], v[46:47], v[52:53]
	v_cmp_neq_f64_e32 vcc, 0, v[46:47]
	s_and_saveexec_b64 s[86:87], vcc
	s_cbranch_execz .LBB22_91
; %bb.82:                               ;   in Loop: Header=BB22_81 Depth=3
	v_cmp_neq_f64_e32 vcc, 0, v[38:39]
	v_xor_b32_e32 v57, 0x80000000, v47
	v_mov_b32_e32 v56, v46
                                        ; implicit-def: $vgpr54_vgpr55
                                        ; implicit-def: $vgpr48_vgpr49
	s_and_saveexec_b64 s[88:89], vcc
	s_xor_b64 s[88:89], exec, s[88:89]
	s_cbranch_execz .LBB22_88
; %bb.83:                               ;   in Loop: Header=BB22_81 Depth=3
	v_cmp_ngt_f64_e64 s[90:91], |v[46:47]|, |v[38:39]|
                                        ; implicit-def: $vgpr54_vgpr55
                                        ; implicit-def: $vgpr48_vgpr49
	s_and_saveexec_b64 vcc, s[90:91]
	s_xor_b64 s[90:91], exec, vcc
	s_cbranch_execz .LBB22_85
; %bb.84:                               ;   in Loop: Header=BB22_81 Depth=3
	v_div_scale_f64 v[0:1], s[16:17], v[38:39], v[38:39], -v[46:47]
	v_rcp_f64_e32 v[15:16], v[0:1]
	v_fma_f64 v[17:18], -v[0:1], v[15:16], 1.0
	v_fma_f64 v[15:16], v[15:16], v[17:18], v[15:16]
	v_div_scale_f64 v[17:18], vcc, -v[46:47], v[38:39], -v[46:47]
	v_fma_f64 v[48:49], -v[0:1], v[15:16], 1.0
	v_fma_f64 v[15:16], v[15:16], v[48:49], v[15:16]
	v_mul_f64 v[48:49], v[17:18], v[15:16]
	v_fma_f64 v[0:1], -v[0:1], v[48:49], v[17:18]
	v_div_fmas_f64 v[0:1], v[0:1], v[15:16], v[48:49]
	v_div_fixup_f64 v[0:1], v[0:1], v[38:39], -v[46:47]
	v_fma_f64 v[15:16], v[0:1], v[0:1], 1.0
	v_cmp_gt_f64_e32 vcc, s[64:65], v[15:16]
	v_cndmask_b32_e32 v4, 0, v60, vcc
	v_ldexp_f64 v[15:16], v[15:16], v4
	v_cndmask_b32_e32 v4, 0, v61, vcc
	v_rsq_f64_e32 v[17:18], v[15:16]
	v_cmp_class_f64_e32 vcc, v[15:16], v59
	v_mul_f64 v[48:49], v[15:16], v[17:18]
	v_mul_f64 v[17:18], v[17:18], 0.5
	v_fma_f64 v[54:55], -v[17:18], v[48:49], 0.5
	v_fma_f64 v[48:49], v[48:49], v[54:55], v[48:49]
	v_fma_f64 v[17:18], v[17:18], v[54:55], v[17:18]
	v_fma_f64 v[54:55], -v[48:49], v[48:49], v[15:16]
	v_fma_f64 v[48:49], v[54:55], v[17:18], v[48:49]
	v_fma_f64 v[54:55], -v[48:49], v[48:49], v[15:16]
	v_fma_f64 v[17:18], v[54:55], v[17:18], v[48:49]
	v_ldexp_f64 v[17:18], v[17:18], v4
	v_cndmask_b32_e32 v16, v18, v16, vcc
	v_cndmask_b32_e32 v15, v17, v15, vcc
	v_div_scale_f64 v[17:18], s[16:17], v[15:16], v[15:16], 1.0
	v_div_scale_f64 v[56:57], vcc, 1.0, v[15:16], 1.0
	v_rcp_f64_e32 v[48:49], v[17:18]
	v_fma_f64 v[54:55], -v[17:18], v[48:49], 1.0
	v_fma_f64 v[48:49], v[48:49], v[54:55], v[48:49]
	v_fma_f64 v[54:55], -v[17:18], v[48:49], 1.0
	v_fma_f64 v[48:49], v[48:49], v[54:55], v[48:49]
	v_mul_f64 v[54:55], v[56:57], v[48:49]
	v_fma_f64 v[17:18], -v[17:18], v[54:55], v[56:57]
	v_div_fmas_f64 v[17:18], v[17:18], v[48:49], v[54:55]
	v_div_fixup_f64 v[48:49], v[17:18], v[15:16], 1.0
	v_mul_f64 v[54:55], v[0:1], v[48:49]
.LBB22_85:                              ;   in Loop: Header=BB22_81 Depth=3
	s_andn2_saveexec_b64 s[90:91], s[90:91]
	s_cbranch_execz .LBB22_87
; %bb.86:                               ;   in Loop: Header=BB22_81 Depth=3
	v_div_scale_f64 v[15:16], s[16:17], v[46:47], v[46:47], -v[38:39]
	v_rcp_f64_e32 v[48:49], v[15:16]
	v_fma_f64 v[54:55], -v[15:16], v[48:49], 1.0
	v_fma_f64 v[48:49], v[48:49], v[54:55], v[48:49]
	v_div_scale_f64 v[54:55], vcc, -v[38:39], v[46:47], -v[38:39]
	v_fma_f64 v[56:57], -v[15:16], v[48:49], 1.0
	v_fma_f64 v[48:49], v[48:49], v[56:57], v[48:49]
	v_mul_f64 v[56:57], v[54:55], v[48:49]
	v_fma_f64 v[15:16], -v[15:16], v[56:57], v[54:55]
	v_div_fmas_f64 v[15:16], v[15:16], v[48:49], v[56:57]
	v_div_fixup_f64 v[15:16], v[15:16], v[46:47], -v[38:39]
	v_fma_f64 v[48:49], v[15:16], v[15:16], 1.0
	v_cmp_gt_f64_e32 vcc, s[64:65], v[48:49]
	v_cndmask_b32_e32 v0, 0, v60, vcc
	v_ldexp_f64 v[48:49], v[48:49], v0
	v_cndmask_b32_e32 v4, 0, v61, vcc
	v_rsq_f64_e32 v[54:55], v[48:49]
	v_cmp_class_f64_e32 vcc, v[48:49], v59
	v_mul_f64 v[56:57], v[48:49], v[54:55]
	v_mul_f64 v[54:55], v[54:55], 0.5
	v_fma_f64 v[0:1], -v[54:55], v[56:57], 0.5
	v_fma_f64 v[56:57], v[56:57], v[0:1], v[56:57]
	v_fma_f64 v[0:1], v[54:55], v[0:1], v[54:55]
	v_fma_f64 v[54:55], -v[56:57], v[56:57], v[48:49]
	v_fma_f64 v[54:55], v[54:55], v[0:1], v[56:57]
	v_fma_f64 v[56:57], -v[54:55], v[54:55], v[48:49]
	v_fma_f64 v[0:1], v[56:57], v[0:1], v[54:55]
	v_ldexp_f64 v[0:1], v[0:1], v4
	v_cndmask_b32_e32 v1, v1, v49, vcc
	v_cndmask_b32_e32 v0, v0, v48, vcc
	v_div_scale_f64 v[48:49], s[16:17], v[0:1], v[0:1], 1.0
	v_div_scale_f64 v[17:18], vcc, 1.0, v[0:1], 1.0
	v_rcp_f64_e32 v[54:55], v[48:49]
	v_fma_f64 v[56:57], -v[48:49], v[54:55], 1.0
	v_fma_f64 v[54:55], v[54:55], v[56:57], v[54:55]
	v_fma_f64 v[56:57], -v[48:49], v[54:55], 1.0
	v_fma_f64 v[54:55], v[54:55], v[56:57], v[54:55]
	v_mul_f64 v[56:57], v[17:18], v[54:55]
	v_fma_f64 v[17:18], -v[48:49], v[56:57], v[17:18]
	v_div_fmas_f64 v[17:18], v[17:18], v[54:55], v[56:57]
	v_div_fixup_f64 v[54:55], v[17:18], v[0:1], 1.0
	v_mul_f64 v[48:49], v[15:16], v[54:55]
.LBB22_87:                              ;   in Loop: Header=BB22_81 Depth=3
	s_or_b64 exec, exec, s[90:91]
	v_mul_f64 v[0:1], v[46:47], v[54:55]
	v_fma_f64 v[56:57], v[38:39], v[48:49], -v[0:1]
.LBB22_88:                              ;   in Loop: Header=BB22_81 Depth=3
	s_andn2_saveexec_b64 s[88:89], s[88:89]
; %bb.89:                               ;   in Loop: Header=BB22_81 Depth=3
	v_mov_b32_e32 v48, 0
	v_mov_b32_e32 v54, 0
	;; [unrolled: 1-line block ×4, first 2 shown]
; %bb.90:                               ;   in Loop: Header=BB22_81 Depth=3
	s_or_b64 exec, exec, s[88:89]
	v_mov_b32_e32 v38, v56
	v_mov_b32_e32 v39, v57
.LBB22_91:                              ;   in Loop: Header=BB22_81 Depth=3
	s_or_b64 exec, exec, s[86:87]
	s_cmp_eq_u32 s27, 0
	s_cbranch_scc1 .LBB22_80
; %bb.92:                               ;   in Loop: Header=BB22_81 Depth=3
	global_store_dwordx2 v[50:51], v[38:39], off offset:8
	s_branch .LBB22_80
.LBB22_93:                              ;   in Loop: Header=BB22_55 Depth=2
	ds_write2_b32 v9, v3, v35 offset0:5 offset1:7
	s_cbranch_execz .LBB22_66
	s_branch .LBB22_67
.LBB22_94:                              ;   in Loop: Header=BB22_55 Depth=2
	s_or_b64 exec, exec, s[76:77]
	s_mov_b32 s84, 0x667f3bcd
	s_mov_b32 s85, 0x3ff6a09e
	ds_write_b64 v9, v[40:41]
.LBB22_95:                              ;   in Loop: Header=BB22_55 Depth=2
	s_or_b64 exec, exec, s[74:75]
	global_load_dwordx2 v[50:51], v[36:37], off
.LBB22_96:                              ;   in Loop: Header=BB22_55 Depth=2
	s_or_b64 exec, exec, s[72:73]
	s_waitcnt vmcnt(0)
	v_add_f64 v[3:4], v[50:51], -v[40:41]
                                        ; implicit-def: $vgpr35
                                        ; implicit-def: $vgpr50_vgpr51
	global_store_dwordx2 v[36:37], v[3:4], off
	global_store_dwordx2 v[5:6], v[38:39], off
                                        ; implicit-def: $vgpr38_vgpr39
                                        ; implicit-def: $vgpr36_vgpr37
.LBB22_97:                              ;   in Loop: Header=BB22_55 Depth=2
	s_andn2_saveexec_b64 s[72:73], s[8:9]
	s_cbranch_execz .LBB22_130
; %bb.98:                               ;   in Loop: Header=BB22_55 Depth=2
	v_mov_b32_e32 v0, s92
	v_add_co_u32_e32 v40, vcc, s14, v38
	v_addc_co_u32_e32 v41, vcc, v0, v39, vcc
	global_load_dwordx2 v[3:4], v[36:37], off offset:8
	global_load_dwordx2 v[46:47], v[40:41], off
                                        ; implicit-def: $vgpr48_vgpr49
	s_waitcnt vmcnt(1)
	v_add_f64 v[44:45], v[50:51], -v[3:4]
	s_waitcnt vmcnt(0)
	v_add_f64 v[42:43], v[46:47], v[46:47]
	v_cmp_ngt_f64_e64 s[8:9], |v[44:45]|, |v[42:43]|
	s_and_saveexec_b64 s[74:75], s[8:9]
	s_xor_b64 s[8:9], exec, s[74:75]
	s_cbranch_execz .LBB22_104
; %bb.99:                               ;   in Loop: Header=BB22_55 Depth=2
	v_cmp_nlt_f64_e64 s[74:75], |v[44:45]|, |v[42:43]|
                                        ; implicit-def: $vgpr48_vgpr49
	s_and_saveexec_b64 s[76:77], s[74:75]
	s_xor_b64 s[74:75], exec, s[76:77]
; %bb.100:                              ;   in Loop: Header=BB22_55 Depth=2
	v_mul_f64 v[48:49], |v[42:43]|, s[84:85]
; %bb.101:                              ;   in Loop: Header=BB22_55 Depth=2
	s_andn2_saveexec_b64 s[74:75], s[74:75]
	s_cbranch_execz .LBB22_103
; %bb.102:                              ;   in Loop: Header=BB22_55 Depth=2
	v_and_b32_e32 v6, 0x7fffffff, v45
	v_mov_b32_e32 v5, v44
	v_and_b32_e32 v49, 0x7fffffff, v43
	v_mov_b32_e32 v48, v42
	v_div_scale_f64 v[52:53], s[76:77], v[48:49], v[48:49], v[5:6]
	v_div_scale_f64 v[5:6], vcc, v[5:6], v[48:49], v[5:6]
	v_rcp_f64_e32 v[54:55], v[52:53]
	v_fma_f64 v[56:57], -v[52:53], v[54:55], 1.0
	v_fma_f64 v[54:55], v[54:55], v[56:57], v[54:55]
	v_fma_f64 v[48:49], -v[52:53], v[54:55], 1.0
	v_fma_f64 v[48:49], v[54:55], v[48:49], v[54:55]
	v_mul_f64 v[54:55], v[5:6], v[48:49]
	v_fma_f64 v[5:6], -v[52:53], v[54:55], v[5:6]
	v_div_fmas_f64 v[5:6], v[5:6], v[48:49], v[54:55]
	v_div_fixup_f64 v[5:6], v[5:6], |v[42:43]|, |v[44:45]|
	v_fma_f64 v[5:6], v[5:6], v[5:6], 1.0
	v_cmp_gt_f64_e32 vcc, s[64:65], v[5:6]
	v_cndmask_b32_e32 v0, 0, v60, vcc
	v_ldexp_f64 v[5:6], v[5:6], v0
	v_cndmask_b32_e32 v0, 0, v61, vcc
	v_rsq_f64_e32 v[48:49], v[5:6]
	v_cmp_class_f64_e32 vcc, v[5:6], v59
	v_mul_f64 v[52:53], v[5:6], v[48:49]
	v_mul_f64 v[48:49], v[48:49], 0.5
	v_fma_f64 v[54:55], -v[48:49], v[52:53], 0.5
	v_fma_f64 v[52:53], v[52:53], v[54:55], v[52:53]
	v_fma_f64 v[48:49], v[48:49], v[54:55], v[48:49]
	v_fma_f64 v[54:55], -v[52:53], v[52:53], v[5:6]
	v_fma_f64 v[52:53], v[54:55], v[48:49], v[52:53]
	v_fma_f64 v[54:55], -v[52:53], v[52:53], v[5:6]
	v_fma_f64 v[48:49], v[54:55], v[48:49], v[52:53]
	v_ldexp_f64 v[48:49], v[48:49], v0
	v_cndmask_b32_e32 v6, v49, v6, vcc
	v_cndmask_b32_e32 v5, v48, v5, vcc
	v_mul_f64 v[48:49], |v[42:43]|, v[5:6]
.LBB22_103:                             ;   in Loop: Header=BB22_55 Depth=2
	s_or_b64 exec, exec, s[74:75]
.LBB22_104:                             ;   in Loop: Header=BB22_55 Depth=2
	s_andn2_saveexec_b64 s[8:9], s[8:9]
	s_cbranch_execz .LBB22_106
; %bb.105:                              ;   in Loop: Header=BB22_55 Depth=2
	v_and_b32_e32 v6, 0x7fffffff, v43
	v_mov_b32_e32 v5, v42
	v_and_b32_e32 v49, 0x7fffffff, v45
	v_mov_b32_e32 v48, v44
	v_div_scale_f64 v[52:53], s[74:75], v[48:49], v[48:49], v[5:6]
	v_div_scale_f64 v[5:6], vcc, v[5:6], v[48:49], v[5:6]
	v_rcp_f64_e32 v[54:55], v[52:53]
	v_fma_f64 v[56:57], -v[52:53], v[54:55], 1.0
	v_fma_f64 v[54:55], v[54:55], v[56:57], v[54:55]
	v_fma_f64 v[48:49], -v[52:53], v[54:55], 1.0
	v_fma_f64 v[48:49], v[54:55], v[48:49], v[54:55]
	v_mul_f64 v[54:55], v[5:6], v[48:49]
	v_fma_f64 v[5:6], -v[52:53], v[54:55], v[5:6]
	v_div_fmas_f64 v[5:6], v[5:6], v[48:49], v[54:55]
	v_div_fixup_f64 v[5:6], v[5:6], |v[44:45]|, |v[42:43]|
	v_fma_f64 v[5:6], v[5:6], v[5:6], 1.0
	v_cmp_gt_f64_e32 vcc, s[64:65], v[5:6]
	v_cndmask_b32_e32 v0, 0, v60, vcc
	v_ldexp_f64 v[5:6], v[5:6], v0
	v_cndmask_b32_e32 v0, 0, v61, vcc
	v_rsq_f64_e32 v[48:49], v[5:6]
	v_cmp_class_f64_e32 vcc, v[5:6], v59
	v_mul_f64 v[52:53], v[5:6], v[48:49]
	v_mul_f64 v[48:49], v[48:49], 0.5
	v_fma_f64 v[54:55], -v[48:49], v[52:53], 0.5
	v_fma_f64 v[52:53], v[52:53], v[54:55], v[52:53]
	v_fma_f64 v[48:49], v[48:49], v[54:55], v[48:49]
	v_fma_f64 v[54:55], -v[52:53], v[52:53], v[5:6]
	v_fma_f64 v[52:53], v[54:55], v[48:49], v[52:53]
	v_fma_f64 v[54:55], -v[52:53], v[52:53], v[5:6]
	v_fma_f64 v[48:49], v[54:55], v[48:49], v[52:53]
	v_ldexp_f64 v[48:49], v[48:49], v0
	v_cndmask_b32_e32 v6, v49, v6, vcc
	v_cndmask_b32_e32 v5, v48, v5, vcc
	v_mul_f64 v[48:49], |v[44:45]|, v[5:6]
.LBB22_106:                             ;   in Loop: Header=BB22_55 Depth=2
	s_or_b64 exec, exec, s[8:9]
	v_add_f64 v[54:55], v[50:51], v[3:4]
	v_cmp_gt_f64_e64 vcc, |v[50:51]|, |v[3:4]|
	v_cmp_ngt_f64_e64 s[8:9], 0, v[54:55]
	v_cndmask_b32_e32 v53, v51, v4, vcc
	v_cndmask_b32_e32 v52, v50, v3, vcc
	;; [unrolled: 1-line block ×4, first 2 shown]
                                        ; implicit-def: $vgpr5_vgpr6
	s_and_saveexec_b64 s[74:75], s[8:9]
	s_xor_b64 s[8:9], exec, s[74:75]
	s_cbranch_execz .LBB22_112
; %bb.107:                              ;   in Loop: Header=BB22_55 Depth=2
	v_cmp_nlt_f64_e32 vcc, 0, v[54:55]
                                        ; implicit-def: $vgpr5_vgpr6
	s_and_saveexec_b64 s[74:75], vcc
	s_xor_b64 s[74:75], exec, s[74:75]
	s_cbranch_execz .LBB22_109
; %bb.108:                              ;   in Loop: Header=BB22_55 Depth=2
	v_mul_f64 v[3:4], v[48:49], 0.5
	v_mul_f64 v[5:6], v[48:49], -0.5
                                        ; implicit-def: $vgpr54_vgpr55
                                        ; implicit-def: $vgpr50_vgpr51
                                        ; implicit-def: $vgpr46_vgpr47
                                        ; implicit-def: $vgpr52_vgpr53
.LBB22_109:                             ;   in Loop: Header=BB22_55 Depth=2
	s_andn2_saveexec_b64 s[74:75], s[74:75]
	s_cbranch_execz .LBB22_111
; %bb.110:                              ;   in Loop: Header=BB22_55 Depth=2
	v_add_f64 v[3:4], v[54:55], v[48:49]
	v_mul_f64 v[3:4], v[3:4], 0.5
	v_div_scale_f64 v[5:6], s[76:77], v[3:4], v[3:4], v[50:51]
	v_rcp_f64_e32 v[15:16], v[5:6]
	v_fma_f64 v[54:55], -v[5:6], v[15:16], 1.0
	v_fma_f64 v[15:16], v[15:16], v[54:55], v[15:16]
	v_fma_f64 v[54:55], -v[5:6], v[15:16], 1.0
	v_fma_f64 v[15:16], v[15:16], v[54:55], v[15:16]
	v_div_scale_f64 v[54:55], vcc, v[50:51], v[3:4], v[50:51]
	v_mul_f64 v[56:57], v[54:55], v[15:16]
	v_fma_f64 v[5:6], -v[5:6], v[56:57], v[54:55]
	s_nop 1
	v_div_fmas_f64 v[5:6], v[5:6], v[15:16], v[56:57]
	v_div_scale_f64 v[15:16], s[76:77], v[3:4], v[3:4], v[46:47]
	v_div_fixup_f64 v[5:6], v[5:6], v[3:4], v[50:51]
	v_rcp_f64_e32 v[50:51], v[15:16]
	v_fma_f64 v[54:55], -v[15:16], v[50:51], 1.0
	v_fma_f64 v[50:51], v[50:51], v[54:55], v[50:51]
	v_fma_f64 v[54:55], -v[15:16], v[50:51], 1.0
	v_fma_f64 v[50:51], v[50:51], v[54:55], v[50:51]
	v_div_scale_f64 v[54:55], vcc, v[46:47], v[3:4], v[46:47]
	v_mul_f64 v[56:57], v[54:55], v[50:51]
	v_fma_f64 v[15:16], -v[15:16], v[56:57], v[54:55]
	s_nop 1
	v_div_fmas_f64 v[15:16], v[15:16], v[50:51], v[56:57]
	v_div_fixup_f64 v[15:16], v[15:16], v[3:4], v[46:47]
	v_mul_f64 v[15:16], v[46:47], v[15:16]
	v_fma_f64 v[5:6], v[52:53], v[5:6], -v[15:16]
.LBB22_111:                             ;   in Loop: Header=BB22_55 Depth=2
	s_or_b64 exec, exec, s[74:75]
                                        ; implicit-def: $vgpr54_vgpr55
                                        ; implicit-def: $vgpr50_vgpr51
                                        ; implicit-def: $vgpr46_vgpr47
                                        ; implicit-def: $vgpr52_vgpr53
.LBB22_112:                             ;   in Loop: Header=BB22_55 Depth=2
	s_or_saveexec_b64 s[8:9], s[8:9]
	v_mov_b32_e32 v10, 1
	s_xor_b64 exec, exec, s[8:9]
	s_cbranch_execz .LBB22_114
; %bb.113:                              ;   in Loop: Header=BB22_55 Depth=2
	v_add_f64 v[3:4], v[54:55], -v[48:49]
	v_mov_b32_e32 v10, -1
	v_mul_f64 v[3:4], v[3:4], 0.5
	v_div_scale_f64 v[5:6], s[74:75], v[3:4], v[3:4], v[50:51]
	v_rcp_f64_e32 v[54:55], v[5:6]
	v_fma_f64 v[56:57], -v[5:6], v[54:55], 1.0
	v_fma_f64 v[54:55], v[54:55], v[56:57], v[54:55]
	v_fma_f64 v[56:57], -v[5:6], v[54:55], 1.0
	v_fma_f64 v[54:55], v[54:55], v[56:57], v[54:55]
	v_div_scale_f64 v[56:57], vcc, v[50:51], v[3:4], v[50:51]
	v_mul_f64 v[15:16], v[56:57], v[54:55]
	v_fma_f64 v[5:6], -v[5:6], v[15:16], v[56:57]
	s_nop 1
	v_div_fmas_f64 v[5:6], v[5:6], v[54:55], v[15:16]
	v_div_scale_f64 v[15:16], s[74:75], v[3:4], v[3:4], v[46:47]
	v_div_fixup_f64 v[5:6], v[5:6], v[3:4], v[50:51]
	v_rcp_f64_e32 v[50:51], v[15:16]
	v_fma_f64 v[54:55], -v[15:16], v[50:51], 1.0
	v_fma_f64 v[50:51], v[50:51], v[54:55], v[50:51]
	v_fma_f64 v[54:55], -v[15:16], v[50:51], 1.0
	v_fma_f64 v[50:51], v[50:51], v[54:55], v[50:51]
	v_div_scale_f64 v[54:55], vcc, v[46:47], v[3:4], v[46:47]
	v_mul_f64 v[56:57], v[54:55], v[50:51]
	v_fma_f64 v[15:16], -v[15:16], v[56:57], v[54:55]
	s_nop 1
	v_div_fmas_f64 v[15:16], v[15:16], v[50:51], v[56:57]
	v_div_fixup_f64 v[15:16], v[15:16], v[3:4], v[46:47]
	v_mul_f64 v[15:16], v[46:47], v[15:16]
	v_fma_f64 v[5:6], v[52:53], v[5:6], -v[15:16]
.LBB22_114:                             ;   in Loop: Header=BB22_55 Depth=2
	s_or_b64 exec, exec, s[8:9]
	v_cmp_nle_f64_e64 s[8:9], 0, v[44:45]
	v_xor_b32_e32 v0, 0x80000000, v49
                                        ; implicit-def: $vgpr46_vgpr47
	v_cndmask_b32_e64 v49, v49, v0, s[8:9]
	v_add_f64 v[44:45], v[44:45], v[48:49]
                                        ; implicit-def: $vgpr48_vgpr49
	v_cmp_ngt_f64_e64 s[74:75], |v[44:45]|, |v[42:43]|
	s_and_saveexec_b64 s[76:77], s[74:75]
	s_xor_b64 s[74:75], exec, s[76:77]
	s_cbranch_execz .LBB22_118
; %bb.115:                              ;   in Loop: Header=BB22_55 Depth=2
	v_cmp_neq_f64_e32 vcc, 0, v[42:43]
	v_mov_b32_e32 v46, 0
	v_mov_b32_e32 v48, 0
	;; [unrolled: 1-line block ×4, first 2 shown]
	s_and_saveexec_b64 s[76:77], vcc
	s_cbranch_execz .LBB22_117
; %bb.116:                              ;   in Loop: Header=BB22_55 Depth=2
	v_div_scale_f64 v[15:16], s[78:79], v[42:43], v[42:43], -v[44:45]
	v_rcp_f64_e32 v[46:47], v[15:16]
	v_fma_f64 v[48:49], -v[15:16], v[46:47], 1.0
	v_fma_f64 v[46:47], v[46:47], v[48:49], v[46:47]
	v_div_scale_f64 v[48:49], vcc, -v[44:45], v[42:43], -v[44:45]
	v_fma_f64 v[50:51], -v[15:16], v[46:47], 1.0
	v_fma_f64 v[46:47], v[46:47], v[50:51], v[46:47]
	v_mul_f64 v[50:51], v[48:49], v[46:47]
	v_fma_f64 v[15:16], -v[15:16], v[50:51], v[48:49]
	v_div_fmas_f64 v[15:16], v[15:16], v[46:47], v[50:51]
	v_div_fixup_f64 v[15:16], v[15:16], v[42:43], -v[44:45]
	v_fma_f64 v[42:43], v[15:16], v[15:16], 1.0
	v_cmp_gt_f64_e32 vcc, s[64:65], v[42:43]
	v_cndmask_b32_e32 v0, 0, v60, vcc
	v_ldexp_f64 v[42:43], v[42:43], v0
	v_cndmask_b32_e32 v0, 0, v61, vcc
	v_rsq_f64_e32 v[44:45], v[42:43]
	v_cmp_class_f64_e32 vcc, v[42:43], v59
	v_mul_f64 v[46:47], v[42:43], v[44:45]
	v_mul_f64 v[44:45], v[44:45], 0.5
	v_fma_f64 v[48:49], -v[44:45], v[46:47], 0.5
	v_fma_f64 v[46:47], v[46:47], v[48:49], v[46:47]
	v_fma_f64 v[44:45], v[44:45], v[48:49], v[44:45]
	v_fma_f64 v[48:49], -v[46:47], v[46:47], v[42:43]
	v_fma_f64 v[46:47], v[48:49], v[44:45], v[46:47]
	v_fma_f64 v[48:49], -v[46:47], v[46:47], v[42:43]
	v_fma_f64 v[44:45], v[48:49], v[44:45], v[46:47]
	v_ldexp_f64 v[44:45], v[44:45], v0
	v_cndmask_b32_e32 v43, v45, v43, vcc
	v_cndmask_b32_e32 v42, v44, v42, vcc
	v_div_scale_f64 v[44:45], s[78:79], v[42:43], v[42:43], 1.0
	v_div_scale_f64 v[50:51], vcc, 1.0, v[42:43], 1.0
	v_rcp_f64_e32 v[46:47], v[44:45]
	v_fma_f64 v[48:49], -v[44:45], v[46:47], 1.0
	v_fma_f64 v[46:47], v[46:47], v[48:49], v[46:47]
	v_fma_f64 v[48:49], -v[44:45], v[46:47], 1.0
	v_fma_f64 v[46:47], v[46:47], v[48:49], v[46:47]
	v_mul_f64 v[48:49], v[50:51], v[46:47]
	v_fma_f64 v[44:45], -v[44:45], v[48:49], v[50:51]
	v_div_fmas_f64 v[44:45], v[44:45], v[46:47], v[48:49]
	v_div_fixup_f64 v[48:49], v[44:45], v[42:43], 1.0
	v_mul_f64 v[46:47], v[15:16], v[48:49]
.LBB22_117:                             ;   in Loop: Header=BB22_55 Depth=2
	s_or_b64 exec, exec, s[76:77]
                                        ; implicit-def: $vgpr44_vgpr45
                                        ; implicit-def: $vgpr42_vgpr43
.LBB22_118:                             ;   in Loop: Header=BB22_55 Depth=2
	s_andn2_saveexec_b64 s[74:75], s[74:75]
	s_cbranch_execz .LBB22_120
; %bb.119:                              ;   in Loop: Header=BB22_55 Depth=2
	v_div_scale_f64 v[15:16], s[76:77], v[44:45], v[44:45], -v[42:43]
	v_rcp_f64_e32 v[46:47], v[15:16]
	v_fma_f64 v[48:49], -v[15:16], v[46:47], 1.0
	v_fma_f64 v[46:47], v[46:47], v[48:49], v[46:47]
	v_div_scale_f64 v[48:49], vcc, -v[42:43], v[44:45], -v[42:43]
	v_fma_f64 v[50:51], -v[15:16], v[46:47], 1.0
	v_fma_f64 v[46:47], v[46:47], v[50:51], v[46:47]
	v_mul_f64 v[50:51], v[48:49], v[46:47]
	v_fma_f64 v[15:16], -v[15:16], v[50:51], v[48:49]
	v_div_fmas_f64 v[15:16], v[15:16], v[46:47], v[50:51]
	v_div_fixup_f64 v[15:16], v[15:16], v[44:45], -v[42:43]
	v_fma_f64 v[42:43], v[15:16], v[15:16], 1.0
	v_cmp_gt_f64_e32 vcc, s[64:65], v[42:43]
	v_cndmask_b32_e32 v0, 0, v60, vcc
	v_ldexp_f64 v[42:43], v[42:43], v0
	v_cndmask_b32_e32 v0, 0, v61, vcc
	v_rsq_f64_e32 v[44:45], v[42:43]
	v_cmp_class_f64_e32 vcc, v[42:43], v59
	v_mul_f64 v[46:47], v[42:43], v[44:45]
	v_mul_f64 v[44:45], v[44:45], 0.5
	v_fma_f64 v[48:49], -v[44:45], v[46:47], 0.5
	v_fma_f64 v[46:47], v[46:47], v[48:49], v[46:47]
	v_fma_f64 v[44:45], v[44:45], v[48:49], v[44:45]
	v_fma_f64 v[48:49], -v[46:47], v[46:47], v[42:43]
	v_fma_f64 v[46:47], v[48:49], v[44:45], v[46:47]
	v_fma_f64 v[48:49], -v[46:47], v[46:47], v[42:43]
	v_fma_f64 v[44:45], v[48:49], v[44:45], v[46:47]
	v_ldexp_f64 v[44:45], v[44:45], v0
	v_cndmask_b32_e32 v43, v45, v43, vcc
	v_cndmask_b32_e32 v42, v44, v42, vcc
	v_div_scale_f64 v[44:45], s[76:77], v[42:43], v[42:43], 1.0
	v_div_scale_f64 v[50:51], vcc, 1.0, v[42:43], 1.0
	v_rcp_f64_e32 v[46:47], v[44:45]
	v_fma_f64 v[48:49], -v[44:45], v[46:47], 1.0
	v_fma_f64 v[46:47], v[46:47], v[48:49], v[46:47]
	v_fma_f64 v[48:49], -v[44:45], v[46:47], 1.0
	v_fma_f64 v[46:47], v[46:47], v[48:49], v[46:47]
	v_mul_f64 v[48:49], v[50:51], v[46:47]
	v_fma_f64 v[44:45], -v[44:45], v[48:49], v[50:51]
	v_div_fmas_f64 v[44:45], v[44:45], v[46:47], v[48:49]
	v_div_fixup_f64 v[46:47], v[44:45], v[42:43], 1.0
	v_mul_f64 v[48:49], v[15:16], v[46:47]
.LBB22_120:                             ;   in Loop: Header=BB22_55 Depth=2
	s_or_b64 exec, exec, s[74:75]
	v_cndmask_b32_e64 v0, 1, -1, s[8:9]
	v_xor_b32_e32 v1, 0x80000000, v47
	v_cmp_eq_u32_e32 vcc, v10, v0
	v_cndmask_b32_e32 v16, v47, v49, vcc
	v_cndmask_b32_e32 v15, v46, v48, vcc
	;; [unrolled: 1-line block ×4, first 2 shown]
	v_mov_b32_e32 v0, s66
	v_add_co_u32_e32 v38, vcc, s95, v38
	v_addc_co_u32_e32 v39, vcc, v0, v39, vcc
	global_store_dwordx2 v[38:39], v[42:43], off
	v_mov_b32_e32 v0, s51
	v_add_co_u32_e32 v38, vcc, s50, v38
	v_addc_co_u32_e32 v39, vcc, v39, v0, vcc
	v_mov_b32_e32 v10, v9
	v_add_u32_e32 v0, 2, v35
	global_store_dwordx2 v[38:39], v[15:16], off offset:-8
	global_store_dwordx4 v[36:37], v[3:6], off
	global_store_dwordx2 v[40:41], v[9:10], off
	ds_write_b32 v9, v0 offset:16
	s_or_b64 exec, exec, s[72:73]
                                        ; implicit-def: $vgpr4
.LBB22_121:                             ;   in Loop: Header=BB22_55 Depth=2
	s_andn2_saveexec_b64 s[8:9], s[70:71]
.LBB22_122:                             ;   in Loop: Header=BB22_55 Depth=2
	ds_write_b32 v9, v4 offset:16
.LBB22_123:                             ;   in Loop: Header=BB22_55 Depth=2
	s_or_b64 exec, exec, s[8:9]
.LBB22_124:                             ;   in Loop: Header=BB22_55 Depth=2
	s_or_b64 exec, exec, s[68:69]
	s_waitcnt vmcnt(0) lgkmcnt(0)
	s_barrier
	ds_read_b64 v[0:1], v9 offset:16
	s_waitcnt lgkmcnt(0)
	v_readfirstlane_b32 s62, v1
	v_cmp_eq_u32_e32 vcc, s62, v0
	v_mov_b32_e32 v35, s62
	s_cbranch_vccnz .LBB22_54
; %bb.125:                              ;   in Loop: Header=BB22_55 Depth=2
	s_and_saveexec_b64 s[8:9], s[2:3]
	s_cbranch_execz .LBB22_53
; %bb.126:                              ;   in Loop: Header=BB22_55 Depth=2
	ds_read_b32 v0, v9 offset:28
	v_mov_b32_e32 v39, v7
	s_waitcnt lgkmcnt(0)
	v_readfirstlane_b32 s68, v0
	s_mul_i32 s16, s68, s15
	s_ashr_i32 s17, s16, 31
	s_lshl_b64 s[16:17], s[16:17], 4
	s_add_u32 s27, s93, s16
	s_addc_u32 s41, s94, s17
	s_sub_i32 s72, s62, s68
	s_mul_hi_i32 s69, s72, s46
	s_mul_i32 s68, s72, s46
	s_lshl_b64 s[68:69], s[68:69], 4
	s_add_u32 s73, s27, s68
	s_addc_u32 s74, s41, s69
	v_ashrrev_i32_e32 v1, 31, v0
	s_cmp_gt_i32 s72, 0
	v_lshlrev_b64 v[0:1], 3, v[0:1]
	s_cselect_b64 s[68:69], -1, 0
	s_add_i32 s62, s72, -1
	s_lshl_b64 s[70:71], s[62:63], 3
	v_mov_b32_e32 v3, s71
	v_add_co_u32_e32 v0, vcc, s70, v0
	s_mul_i32 s70, s59, s62
	s_mul_hi_u32 s71, s58, s62
	v_addc_co_u32_e32 v1, vcc, v1, v3, vcc
	s_add_i32 s71, s71, s70
	s_mul_i32 s62, s58, s62
	v_mov_b32_e32 v3, s66
	v_add_co_u32_e32 v35, vcc, s95, v0
	s_add_u32 s16, s62, s16
	v_addc_co_u32_e32 v36, vcc, v3, v1, vcc
	s_addc_u32 s17, s71, s17
	v_mov_b32_e32 v0, s17
	v_add_co_u32_e32 v37, vcc, s16, v8
	v_addc_co_u32_e32 v38, vcc, v58, v0, vcc
	s_mov_b64 s[70:71], 0
	s_branch .LBB22_128
.LBB22_127:                             ;   in Loop: Header=BB22_128 Depth=3
	v_add_u32_e32 v39, s36, v39
	v_cmp_le_i32_e32 vcc, s10, v39
	v_mov_b32_e32 v0, s61
	s_or_b64 s[70:71], vcc, s[70:71]
	v_add_co_u32_e32 v37, vcc, s60, v37
	v_addc_co_u32_e32 v38, vcc, v38, v0, vcc
	s_waitcnt vmcnt(0)
	global_store_dwordx4 v[40:41], v[3:6], off
	s_andn2_b64 exec, exec, s[70:71]
	s_cbranch_execz .LBB22_53
.LBB22_128:                             ;   Parent Loop BB22_7 Depth=1
                                        ;     Parent Loop BB22_55 Depth=2
                                        ; =>    This Loop Header: Depth=3
                                        ;         Child Loop BB22_129 Depth 4
	v_ashrrev_i32_e32 v40, 31, v39
	v_lshlrev_b64 v[0:1], 4, v[39:40]
	v_mov_b32_e32 v4, s74
	v_add_co_u32_e32 v3, vcc, s73, v0
	v_addc_co_u32_e32 v4, vcc, v4, v1, vcc
	global_load_dwordx4 v[3:6], v[3:4], off
	v_mov_b32_e32 v10, s41
	v_add_co_u32_e32 v40, vcc, s27, v0
	v_addc_co_u32_e32 v41, vcc, v10, v1, vcc
	v_mov_b32_e32 v43, v38
	v_mov_b32_e32 v45, v36
	s_andn2_b64 vcc, exec, s[68:69]
	v_mov_b32_e32 v42, v37
	v_mov_b32_e32 v44, v35
	s_mov_b32 s62, s72
	s_cbranch_vccnz .LBB22_127
.LBB22_129:                             ;   Parent Loop BB22_7 Depth=1
                                        ;     Parent Loop BB22_55 Depth=2
                                        ;       Parent Loop BB22_128 Depth=3
                                        ; =>      This Inner Loop Header: Depth=4
	v_add_co_u32_e32 v15, vcc, s11, v44
	v_mov_b32_e32 v10, s55
	v_addc_co_u32_e32 v16, vcc, v45, v10, vcc
	global_load_dwordx2 v[0:1], v[44:45], off
	s_nop 0
	global_load_dwordx2 v[15:16], v[15:16], off
	s_nop 0
	global_load_dwordx4 v[46:49], v[42:43], off offset:-8
	s_mul_i32 s16, s62, s47
	s_mul_hi_u32 s17, s62, s46
	s_add_i32 s17, s17, s16
	s_mul_i32 s16, s62, s46
	s_lshl_b64 s[16:17], s[16:17], 4
	v_mov_b32_e32 v10, s17
	s_add_i32 s75, s62, -1
	s_cmp_eq_u32 s75, 0
	s_mov_b32 s62, s75
	s_waitcnt vmcnt(0)
	v_mul_f64 v[17:18], v[15:16], v[46:47]
	v_mul_f64 v[52:53], v[15:16], v[48:49]
	v_fma_f64 v[50:51], v[3:4], v[0:1], -v[17:18]
	v_fma_f64 v[52:53], v[5:6], v[0:1], -v[52:53]
	v_add_co_u32_e32 v17, vcc, s16, v40
	v_addc_co_u32_e32 v18, vcc, v41, v10, vcc
	v_add_co_u32_e32 v44, vcc, -8, v44
	v_addc_co_u32_e32 v45, vcc, -1, v45, vcc
	global_store_dwordx4 v[17:18], v[50:53], off
	v_mul_f64 v[17:18], v[0:1], v[46:47]
	v_mul_f64 v[0:1], v[0:1], v[48:49]
	v_add_co_u32_e32 v42, vcc, s37, v42
	v_fma_f64 v[3:4], v[3:4], v[15:16], v[17:18]
	v_fma_f64 v[5:6], v[5:6], v[15:16], v[0:1]
	v_mov_b32_e32 v0, s52
	v_addc_co_u32_e32 v43, vcc, v43, v0, vcc
	s_cbranch_scc0 .LBB22_129
	s_branch .LBB22_127
.LBB22_130:                             ;   in Loop: Header=BB22_55 Depth=2
	s_or_b64 exec, exec, s[72:73]
                                        ; implicit-def: $vgpr4
	s_andn2_saveexec_b64 s[8:9], s[70:71]
	s_cbranch_execnz .LBB22_122
	s_branch .LBB22_123
.LBB22_131:                             ;   in Loop: Header=BB22_133 Depth=2
	s_or_b64 exec, exec, s[6:7]
	s_waitcnt vmcnt(0)
	s_barrier
	ds_read_b32 v27, v9 offset:16
.LBB22_132:                             ;   in Loop: Header=BB22_133 Depth=2
	ds_read_b64 v[29:30], v9 offset:32
	s_waitcnt lgkmcnt(0)
	v_cmp_ge_i32_e32 vcc, v27, v29
	v_cmp_gt_i32_e64 s[6:7], s33, v30
	s_and_b64 s[6:7], vcc, s[6:7]
	s_andn2_b64 vcc, exec, s[6:7]
	s_cbranch_vccnz .LBB22_210
.LBB22_133:                             ;   Parent Loop BB22_7 Depth=1
                                        ; =>  This Loop Header: Depth=2
                                        ;       Child Loop BB22_139 Depth 3
                                        ;       Child Loop BB22_159 Depth 3
	;; [unrolled: 1-line block ×3, first 2 shown]
                                        ;         Child Loop BB22_207 Depth 4
	s_and_saveexec_b64 s[8:9], s[0:1]
	s_cbranch_execz .LBB22_202
; %bb.134:                              ;   in Loop: Header=BB22_133 Depth=2
	v_cmp_gt_i32_e32 vcc, v27, v29
	s_mov_b64 s[6:7], 0
	s_cbranch_vccnz .LBB22_136
; %bb.135:                              ;   in Loop: Header=BB22_133 Depth=2
	s_waitcnt vmcnt(0)
	v_ashrrev_i32_e32 v28, 31, v27
	v_mov_b32_e32 v4, v27
	s_mov_b64 s[68:69], -1
	v_mov_b32_e32 v5, v28
	v_mov_b32_e32 v3, v27
	s_cbranch_execz .LBB22_137
	s_branch .LBB22_142
.LBB22_136:                             ;   in Loop: Header=BB22_133 Depth=2
                                        ; implicit-def: $vgpr4_vgpr5
	s_mov_b64 s[68:69], 0
	v_mov_b32_e32 v3, v27
.LBB22_137:                             ;   in Loop: Header=BB22_133 Depth=2
	s_waitcnt vmcnt(0)
	v_ashrrev_i32_e32 v28, 31, v27
	v_lshlrev_b64 v[0:1], 3, v[27:28]
	v_mov_b32_e32 v3, s92
	v_add_co_u32_e32 v13, vcc, s14, v0
	v_addc_co_u32_e32 v14, vcc, v3, v1, vcc
	v_mov_b32_e32 v4, s26
	v_add_co_u32_e32 v3, vcc, s53, v0
	v_addc_co_u32_e32 v4, vcc, v4, v1, vcc
	v_mov_b32_e32 v5, v27
	s_branch .LBB22_139
.LBB22_138:                             ;   in Loop: Header=BB22_139 Depth=3
	v_add_u32_e32 v5, -1, v62
	v_add_co_u32_e32 v3, vcc, -8, v3
	v_addc_co_u32_e32 v4, vcc, -1, v4, vcc
	s_mov_b64 s[68:69], 0
	v_cmp_le_i32_e64 s[6:7], v5, v29
	s_andn2_b64 vcc, exec, s[6:7]
	v_add_co_u32_e64 v13, s[6:7], -8, v13
	v_addc_co_u32_e64 v14, s[6:7], -1, v14, s[6:7]
	s_cbranch_vccz .LBB22_141
.LBB22_139:                             ;   Parent Loop BB22_7 Depth=1
                                        ;     Parent Loop BB22_133 Depth=2
                                        ; =>    This Inner Loop Header: Depth=3
	global_load_dwordx4 v[31:34], v[3:4], off
	global_load_dwordx2 v[0:1], v[13:14], off offset:-8
	v_mov_b32_e32 v62, v5
	s_waitcnt vmcnt(1)
	v_mul_f64 v[15:16], v[33:34], v[31:32]
	s_waitcnt vmcnt(0)
	v_mul_f64 v[0:1], v[0:1], v[0:1]
	v_mul_f64 v[15:16], v[11:12], |v[15:16]|
	v_cmp_le_f64_e64 s[6:7], |v[0:1]|, v[15:16]
	s_and_b64 vcc, exec, s[6:7]
	s_cbranch_vccz .LBB22_138
; %bb.140:                              ;   in Loop: Header=BB22_133 Depth=2
	s_mov_b64 s[68:69], -1
                                        ; implicit-def: $vgpr5
                                        ; implicit-def: $vgpr3_vgpr4
	v_add_co_u32_e64 v13, s[6:7], -8, v13
	v_addc_co_u32_e64 v14, s[6:7], -1, v14, s[6:7]
.LBB22_141:                             ;   in Loop: Header=BB22_133 Depth=2
	v_mov_b32_e32 v19, v27
	v_mov_b32_e32 v4, v27
	s_xor_b64 s[68:69], s[68:69], -1
	s_mov_b64 s[6:7], -1
	v_mov_b32_e32 v20, v28
	v_mov_b32_e32 v3, v29
	v_mov_b32_e32 v5, v28
.LBB22_142:                             ;   in Loop: Header=BB22_133 Depth=2
	s_and_b64 vcc, exec, s[68:69]
	s_cbranch_vccnz .LBB22_171
; %bb.143:                              ;   in Loop: Header=BB22_133 Depth=2
	s_andn2_b64 vcc, exec, s[6:7]
	s_cbranch_vccnz .LBB22_145
.LBB22_144:                             ;   in Loop: Header=BB22_133 Depth=2
	v_mov_b32_e32 v4, v19
	v_mov_b32_e32 v10, v9
	;; [unrolled: 1-line block ×4, first 2 shown]
	ds_write2_b32 v9, v62, v27 offset0:5 offset1:7
	global_store_dwordx2 v[13:14], v[9:10], off
.LBB22_145:                             ;   in Loop: Header=BB22_133 Depth=2
	s_waitcnt vmcnt(1)
	v_lshlrev_b64 v[31:32], 3, v[4:5]
	v_mov_b32_e32 v0, s23
	s_waitcnt vmcnt(0)
	v_add_co_u32_e32 v28, vcc, s22, v31
	v_addc_co_u32_e32 v29, vcc, v0, v32, vcc
	global_load_dwordx2 v[43:44], v[28:29], off
	v_cmp_ne_u32_e32 vcc, v3, v27
	v_add_u32_e32 v4, -1, v27
	s_waitcnt vmcnt(0)
	ds_write_b64 v9, v[43:44]
	s_and_saveexec_b64 s[6:7], vcc
	s_xor_b64 s[68:69], exec, s[6:7]
	s_cbranch_execz .LBB22_199
; %bb.146:                              ;   in Loop: Header=BB22_133 Depth=2
	v_cmp_ne_u32_e32 vcc, v3, v4
	s_and_saveexec_b64 s[6:7], vcc
	s_xor_b64 s[6:7], exec, s[6:7]
	s_cbranch_execz .LBB22_175
; %bb.147:                              ;   in Loop: Header=BB22_133 Depth=2
	v_mov_b32_e32 v4, s92
	v_add_co_u32_e32 v5, vcc, s14, v31
	v_addc_co_u32_e32 v6, vcc, v4, v32, vcc
	global_load_dwordx2 v[0:1], v[28:29], off offset:-8
	global_load_dwordx2 v[15:16], v[5:6], off offset:-8
	s_waitcnt vmcnt(1)
	v_add_f64 v[0:1], v[0:1], -v[43:44]
	s_waitcnt vmcnt(0)
	v_add_f64 v[17:18], v[15:16], v[15:16]
	v_div_scale_f64 v[31:32], s[16:17], v[17:18], v[17:18], v[0:1]
	v_rcp_f64_e32 v[33:34], v[31:32]
	v_fma_f64 v[35:36], -v[31:32], v[33:34], 1.0
	v_fma_f64 v[33:34], v[33:34], v[35:36], v[33:34]
	v_div_scale_f64 v[35:36], vcc, v[0:1], v[17:18], v[0:1]
	v_fma_f64 v[37:38], -v[31:32], v[33:34], 1.0
	v_fma_f64 v[33:34], v[33:34], v[37:38], v[33:34]
	v_mul_f64 v[37:38], v[35:36], v[33:34]
	v_fma_f64 v[31:32], -v[31:32], v[37:38], v[35:36]
	v_div_fmas_f64 v[31:32], v[31:32], v[33:34], v[37:38]
	v_div_fixup_f64 v[0:1], v[31:32], v[17:18], v[0:1]
	v_fma_f64 v[17:18], v[0:1], v[0:1], 1.0
	v_cmp_gt_f64_e32 vcc, s[64:65], v[17:18]
	v_cndmask_b32_e32 v4, 0, v60, vcc
	v_ldexp_f64 v[17:18], v[17:18], v4
	v_cndmask_b32_e32 v4, 0, v61, vcc
	v_rsq_f64_e32 v[31:32], v[17:18]
	v_cmp_class_f64_e32 vcc, v[17:18], v59
	v_mul_f64 v[33:34], v[17:18], v[31:32]
	v_mul_f64 v[31:32], v[31:32], 0.5
	v_fma_f64 v[35:36], -v[31:32], v[33:34], 0.5
	v_fma_f64 v[33:34], v[33:34], v[35:36], v[33:34]
	v_fma_f64 v[31:32], v[31:32], v[35:36], v[31:32]
	v_fma_f64 v[35:36], -v[33:34], v[33:34], v[17:18]
	v_fma_f64 v[33:34], v[35:36], v[31:32], v[33:34]
	v_fma_f64 v[35:36], -v[33:34], v[33:34], v[17:18]
	v_fma_f64 v[31:32], v[35:36], v[31:32], v[33:34]
	v_ldexp_f64 v[31:32], v[31:32], v4
	v_cndmask_b32_e32 v4, v32, v18, vcc
	v_cndmask_b32_e32 v17, v31, v17, vcc
	v_cmp_nle_f64_e32 vcc, 0, v[0:1]
	v_and_b32_e32 v10, 0x7fffffff, v4
	v_or_b32_e32 v4, 0x80000000, v4
	v_cndmask_b32_e32 v18, v10, v4, vcc
	v_add_f64 v[0:1], v[0:1], v[17:18]
	v_ashrrev_i32_e32 v4, 31, v3
	v_lshlrev_b64 v[38:39], 3, v[3:4]
	v_mov_b32_e32 v10, s23
	v_add_co_u32_e32 v36, vcc, s22, v38
	v_addc_co_u32_e32 v37, vcc, v10, v39, vcc
	v_div_scale_f64 v[17:18], s[16:17], v[0:1], v[0:1], v[15:16]
	global_load_dwordx2 v[40:41], v[36:37], off
	v_div_scale_f64 v[45:46], vcc, v[15:16], v[0:1], v[15:16]
	v_mov_b32_e32 v10, v9
	ds_write_b64 v9, v[9:10]
	v_rcp_f64_e32 v[31:32], v[17:18]
	v_fma_f64 v[33:34], -v[17:18], v[31:32], 1.0
	v_fma_f64 v[31:32], v[31:32], v[33:34], v[31:32]
	v_fma_f64 v[33:34], -v[17:18], v[31:32], 1.0
	v_fma_f64 v[31:32], v[31:32], v[33:34], v[31:32]
	v_mul_f64 v[33:34], v[45:46], v[31:32]
	v_fma_f64 v[17:18], -v[17:18], v[33:34], v[45:46]
	v_div_fmas_f64 v[17:18], v[17:18], v[31:32], v[33:34]
	v_mov_b32_e32 v34, 0
	s_waitcnt vmcnt(0)
	v_add_f64 v[31:32], v[40:41], -v[43:44]
	v_mov_b32_e32 v35, 0
	v_cmp_lt_i32_e32 vcc, v3, v27
	v_div_fixup_f64 v[0:1], v[17:18], v[0:1], v[15:16]
	v_add_f64 v[32:33], v[31:32], v[0:1]
	v_add_u32_e32 v0, 1, v30
	ds_write_b32 v9, v0 offset:36
	s_and_saveexec_b64 s[70:71], vcc
	s_cbranch_execz .LBB22_174
; %bb.148:                              ;   in Loop: Header=BB22_133 Depth=2
	v_mov_b32_e32 v1, s92
	v_add_co_u32_e32 v0, vcc, s14, v38
	v_addc_co_u32_e32 v1, vcc, v1, v39, vcc
	global_load_dwordx2 v[42:43], v[0:1], off
	v_mov_b32_e32 v46, 0
	v_mov_b32_e32 v30, 0
	;; [unrolled: 1-line block ×4, first 2 shown]
	s_waitcnt vmcnt(0)
	v_cmp_neq_f64_e32 vcc, 0, v[42:43]
	s_and_saveexec_b64 s[72:73], vcc
	s_cbranch_execz .LBB22_156
; %bb.149:                              ;   in Loop: Header=BB22_133 Depth=2
	v_cmp_neq_f64_e32 vcc, 0, v[32:33]
	v_mov_b32_e32 v30, 0
	v_mov_b32_e32 v46, 0
	;; [unrolled: 1-line block ×4, first 2 shown]
	s_and_saveexec_b64 s[74:75], vcc
	s_cbranch_execz .LBB22_155
; %bb.150:                              ;   in Loop: Header=BB22_133 Depth=2
	v_cmp_ngt_f64_e64 s[16:17], |v[42:43]|, |v[32:33]|
                                        ; implicit-def: $vgpr46_vgpr47
                                        ; implicit-def: $vgpr30_vgpr31
	s_and_saveexec_b64 s[76:77], s[16:17]
	s_xor_b64 s[76:77], exec, s[76:77]
	s_cbranch_execz .LBB22_152
; %bb.151:                              ;   in Loop: Header=BB22_133 Depth=2
	v_div_scale_f64 v[0:1], s[16:17], v[32:33], v[32:33], -v[42:43]
	v_rcp_f64_e32 v[15:16], v[0:1]
	v_fma_f64 v[17:18], -v[0:1], v[15:16], 1.0
	v_fma_f64 v[15:16], v[15:16], v[17:18], v[15:16]
	v_div_scale_f64 v[17:18], vcc, -v[42:43], v[32:33], -v[42:43]
	v_fma_f64 v[30:31], -v[0:1], v[15:16], 1.0
	v_fma_f64 v[15:16], v[15:16], v[30:31], v[15:16]
	v_mul_f64 v[30:31], v[17:18], v[15:16]
	v_fma_f64 v[0:1], -v[0:1], v[30:31], v[17:18]
	v_div_fmas_f64 v[0:1], v[0:1], v[15:16], v[30:31]
	v_div_fixup_f64 v[0:1], v[0:1], v[32:33], -v[42:43]
	v_fma_f64 v[15:16], v[0:1], v[0:1], 1.0
	v_cmp_gt_f64_e32 vcc, s[64:65], v[15:16]
	v_cndmask_b32_e32 v4, 0, v60, vcc
	v_ldexp_f64 v[15:16], v[15:16], v4
	v_cndmask_b32_e32 v4, 0, v61, vcc
	v_rsq_f64_e32 v[17:18], v[15:16]
	v_cmp_class_f64_e32 vcc, v[15:16], v59
	v_mul_f64 v[30:31], v[15:16], v[17:18]
	v_mul_f64 v[17:18], v[17:18], 0.5
	v_fma_f64 v[32:33], -v[17:18], v[30:31], 0.5
	v_fma_f64 v[30:31], v[30:31], v[32:33], v[30:31]
	v_fma_f64 v[17:18], v[17:18], v[32:33], v[17:18]
	v_fma_f64 v[32:33], -v[30:31], v[30:31], v[15:16]
	v_fma_f64 v[30:31], v[32:33], v[17:18], v[30:31]
	v_fma_f64 v[32:33], -v[30:31], v[30:31], v[15:16]
	v_fma_f64 v[17:18], v[32:33], v[17:18], v[30:31]
	v_ldexp_f64 v[17:18], v[17:18], v4
	v_cndmask_b32_e32 v16, v18, v16, vcc
	v_cndmask_b32_e32 v15, v17, v15, vcc
	v_div_scale_f64 v[17:18], s[16:17], v[15:16], v[15:16], 1.0
	v_div_scale_f64 v[34:35], vcc, 1.0, v[15:16], 1.0
	v_rcp_f64_e32 v[30:31], v[17:18]
	v_fma_f64 v[32:33], -v[17:18], v[30:31], 1.0
	v_fma_f64 v[30:31], v[30:31], v[32:33], v[30:31]
	v_fma_f64 v[32:33], -v[17:18], v[30:31], 1.0
	v_fma_f64 v[30:31], v[30:31], v[32:33], v[30:31]
	v_mul_f64 v[32:33], v[34:35], v[30:31]
	v_fma_f64 v[17:18], -v[17:18], v[32:33], v[34:35]
	v_div_fmas_f64 v[17:18], v[17:18], v[30:31], v[32:33]
                                        ; implicit-def: $vgpr32_vgpr33
	v_div_fixup_f64 v[30:31], v[17:18], v[15:16], 1.0
	v_mul_f64 v[46:47], v[0:1], v[30:31]
.LBB22_152:                             ;   in Loop: Header=BB22_133 Depth=2
	s_andn2_saveexec_b64 s[76:77], s[76:77]
	s_cbranch_execz .LBB22_154
; %bb.153:                              ;   in Loop: Header=BB22_133 Depth=2
	v_div_scale_f64 v[0:1], s[16:17], v[42:43], v[42:43], -v[32:33]
	v_rcp_f64_e32 v[15:16], v[0:1]
	v_fma_f64 v[17:18], -v[0:1], v[15:16], 1.0
	v_fma_f64 v[15:16], v[15:16], v[17:18], v[15:16]
	v_div_scale_f64 v[17:18], vcc, -v[32:33], v[42:43], -v[32:33]
	v_fma_f64 v[30:31], -v[0:1], v[15:16], 1.0
	v_fma_f64 v[15:16], v[15:16], v[30:31], v[15:16]
	v_mul_f64 v[30:31], v[17:18], v[15:16]
	v_fma_f64 v[0:1], -v[0:1], v[30:31], v[17:18]
	v_div_fmas_f64 v[0:1], v[0:1], v[15:16], v[30:31]
	v_div_fixup_f64 v[0:1], v[0:1], v[42:43], -v[32:33]
	v_fma_f64 v[15:16], v[0:1], v[0:1], 1.0
	v_cmp_gt_f64_e32 vcc, s[64:65], v[15:16]
	v_cndmask_b32_e32 v4, 0, v60, vcc
	v_ldexp_f64 v[15:16], v[15:16], v4
	v_cndmask_b32_e32 v4, 0, v61, vcc
	v_rsq_f64_e32 v[17:18], v[15:16]
	v_cmp_class_f64_e32 vcc, v[15:16], v59
	v_mul_f64 v[30:31], v[15:16], v[17:18]
	v_mul_f64 v[17:18], v[17:18], 0.5
	v_fma_f64 v[32:33], -v[17:18], v[30:31], 0.5
	v_fma_f64 v[30:31], v[30:31], v[32:33], v[30:31]
	v_fma_f64 v[17:18], v[17:18], v[32:33], v[17:18]
	v_fma_f64 v[32:33], -v[30:31], v[30:31], v[15:16]
	v_fma_f64 v[30:31], v[32:33], v[17:18], v[30:31]
	v_fma_f64 v[32:33], -v[30:31], v[30:31], v[15:16]
	v_fma_f64 v[17:18], v[32:33], v[17:18], v[30:31]
	v_ldexp_f64 v[17:18], v[17:18], v4
	v_cndmask_b32_e32 v16, v18, v16, vcc
	v_cndmask_b32_e32 v15, v17, v15, vcc
	v_div_scale_f64 v[17:18], s[16:17], v[15:16], v[15:16], 1.0
	v_div_scale_f64 v[34:35], vcc, 1.0, v[15:16], 1.0
	v_rcp_f64_e32 v[30:31], v[17:18]
	v_fma_f64 v[32:33], -v[17:18], v[30:31], 1.0
	v_fma_f64 v[30:31], v[30:31], v[32:33], v[30:31]
	v_fma_f64 v[32:33], -v[17:18], v[30:31], 1.0
	v_fma_f64 v[30:31], v[30:31], v[32:33], v[30:31]
	v_mul_f64 v[32:33], v[34:35], v[30:31]
	v_fma_f64 v[17:18], -v[17:18], v[32:33], v[34:35]
	v_div_fmas_f64 v[17:18], v[17:18], v[30:31], v[32:33]
	v_div_fixup_f64 v[46:47], v[17:18], v[15:16], 1.0
	v_mul_f64 v[30:31], v[0:1], v[46:47]
.LBB22_154:                             ;   in Loop: Header=BB22_133 Depth=2
	s_or_b64 exec, exec, s[76:77]
.LBB22_155:                             ;   in Loop: Header=BB22_133 Depth=2
	s_or_b64 exec, exec, s[74:75]
.LBB22_156:                             ;   in Loop: Header=BB22_133 Depth=2
	s_or_b64 exec, exec, s[72:73]
	global_load_dwordx2 v[0:1], v[36:37], off offset:8
	v_add_f64 v[15:16], v[30:31], v[30:31]
	v_mov_b32_e32 v4, s66
	v_add_co_u32_e32 v17, vcc, s95, v38
	v_addc_co_u32_e32 v18, vcc, v4, v39, vcc
	v_mov_b32_e32 v10, s51
	v_add_u32_e32 v48, 1, v3
	v_xor_b32_e32 v45, 0x80000000, v47
	v_mov_b32_e32 v44, v46
	s_waitcnt vmcnt(0)
	v_add_f64 v[0:1], v[0:1], -v[40:41]
	v_mul_f64 v[0:1], v[46:47], v[0:1]
	v_fma_f64 v[0:1], v[42:43], v[15:16], -v[0:1]
	v_mul_f64 v[34:35], v[0:1], -v[46:47]
	v_fma_f64 v[15:16], v[0:1], -v[46:47], v[40:41]
	v_fma_f64 v[32:33], v[30:31], v[0:1], -v[42:43]
	v_add_co_u32_e32 v0, vcc, s50, v17
	v_addc_co_u32_e32 v1, vcc, v18, v10, vcc
	v_cmp_lt_i32_e32 vcc, v48, v27
	ds_write_b64 v9, v[34:35]
	global_store_dwordx2 v[36:37], v[15:16], off
	global_store_dwordx2 v[17:18], v[30:31], off
	global_store_dwordx2 v[0:1], v[44:45], off offset:-8
	s_and_saveexec_b64 s[72:73], vcc
	s_cbranch_execz .LBB22_173
; %bb.157:                              ;   in Loop: Header=BB22_133 Depth=2
	v_ashrrev_i32_e32 v49, 31, v48
	v_lshlrev_b64 v[0:1], 3, v[48:49]
	v_mov_b32_e32 v4, s66
	v_add_co_u32_e32 v36, vcc, s95, v0
	v_addc_co_u32_e32 v37, vcc, v4, v1, vcc
	v_mov_b32_e32 v4, s57
	v_add_co_u32_e32 v38, vcc, s56, v0
	v_addc_co_u32_e32 v39, vcc, v4, v1, vcc
	;; [unrolled: 3-line block ×3, first 2 shown]
	s_mov_b32 s27, 1
	s_mov_b64 s[74:75], 0
	s_branch .LBB22_159
.LBB22_158:                             ;   in Loop: Header=BB22_159 Depth=3
	global_load_dwordx4 v[50:53], v[40:41], off
	v_mul_f64 v[17:18], v[30:31], v[42:43]
	v_add_f64 v[30:31], v[46:47], v[46:47]
	v_add_co_u32_e32 v38, vcc, 8, v38
	v_addc_co_u32_e32 v39, vcc, 0, v39, vcc
	v_mov_b32_e32 v4, s55
	s_add_i32 s27, s27, 1
	v_xor_b32_e32 v45, 0x80000000, v49
	v_mov_b32_e32 v44, v48
	s_waitcnt vmcnt(0)
	v_add_f64 v[0:1], v[50:51], -v[34:35]
	v_add_f64 v[15:16], v[52:53], -v[0:1]
	v_mul_f64 v[15:16], v[48:49], v[15:16]
	v_fma_f64 v[15:16], v[17:18], v[30:31], -v[15:16]
	v_add_co_u32_e32 v30, vcc, 8, v40
	v_addc_co_u32_e32 v31, vcc, 0, v41, vcc
	v_add_co_u32_e32 v42, vcc, s11, v36
	v_addc_co_u32_e32 v43, vcc, v37, v4, vcc
	v_fma_f64 v[0:1], v[15:16], -v[48:49], v[0:1]
	v_mul_f64 v[34:35], v[15:16], -v[48:49]
	v_fma_f64 v[32:33], v[46:47], v[15:16], -v[17:18]
	v_add_u32_e32 v4, s27, v3
	v_cmp_ge_i32_e32 vcc, v4, v27
	s_or_b64 s[74:75], vcc, s[74:75]
	global_store_dwordx2 v[40:41], v[0:1], off
	global_store_dwordx2 v[36:37], v[46:47], off
	;; [unrolled: 1-line block ×3, first 2 shown]
	v_mov_b32_e32 v41, v31
	v_add_co_u32_e32 v36, vcc, 8, v36
	v_mov_b32_e32 v40, v30
	v_mov_b32_e32 v30, v46
	v_addc_co_u32_e32 v37, vcc, 0, v37, vcc
	v_mov_b32_e32 v31, v47
	s_andn2_b64 exec, exec, s[74:75]
	s_cbranch_execz .LBB22_172
.LBB22_159:                             ;   Parent Loop BB22_7 Depth=1
                                        ;     Parent Loop BB22_133 Depth=2
                                        ; =>    This Inner Loop Header: Depth=3
	global_load_dwordx2 v[42:43], v[38:39], off offset:8
	v_mov_b32_e32 v48, 0
	v_mov_b32_e32 v46, 0
	;; [unrolled: 1-line block ×4, first 2 shown]
	s_waitcnt vmcnt(0)
	v_mul_f64 v[44:45], v[44:45], v[42:43]
	v_cmp_neq_f64_e32 vcc, 0, v[44:45]
	s_and_saveexec_b64 s[76:77], vcc
	s_cbranch_execz .LBB22_169
; %bb.160:                              ;   in Loop: Header=BB22_159 Depth=3
	v_cmp_neq_f64_e32 vcc, 0, v[32:33]
	v_xor_b32_e32 v51, 0x80000000, v45
	v_mov_b32_e32 v50, v44
                                        ; implicit-def: $vgpr48_vgpr49
                                        ; implicit-def: $vgpr46_vgpr47
	s_and_saveexec_b64 s[16:17], vcc
	s_xor_b64 s[78:79], exec, s[16:17]
	s_cbranch_execz .LBB22_166
; %bb.161:                              ;   in Loop: Header=BB22_159 Depth=3
	v_cmp_ngt_f64_e64 s[16:17], |v[44:45]|, |v[32:33]|
                                        ; implicit-def: $vgpr48_vgpr49
                                        ; implicit-def: $vgpr46_vgpr47
	s_and_saveexec_b64 s[80:81], s[16:17]
	s_xor_b64 s[80:81], exec, s[80:81]
	s_cbranch_execz .LBB22_163
; %bb.162:                              ;   in Loop: Header=BB22_159 Depth=3
	v_div_scale_f64 v[0:1], s[16:17], v[32:33], v[32:33], -v[44:45]
	v_rcp_f64_e32 v[15:16], v[0:1]
	v_fma_f64 v[17:18], -v[0:1], v[15:16], 1.0
	v_fma_f64 v[15:16], v[15:16], v[17:18], v[15:16]
	v_div_scale_f64 v[17:18], vcc, -v[44:45], v[32:33], -v[44:45]
	v_fma_f64 v[46:47], -v[0:1], v[15:16], 1.0
	v_fma_f64 v[15:16], v[15:16], v[46:47], v[15:16]
	v_mul_f64 v[46:47], v[17:18], v[15:16]
	v_fma_f64 v[0:1], -v[0:1], v[46:47], v[17:18]
	v_div_fmas_f64 v[0:1], v[0:1], v[15:16], v[46:47]
	v_div_fixup_f64 v[0:1], v[0:1], v[32:33], -v[44:45]
	v_fma_f64 v[15:16], v[0:1], v[0:1], 1.0
	v_cmp_gt_f64_e32 vcc, s[64:65], v[15:16]
	v_cndmask_b32_e32 v4, 0, v60, vcc
	v_ldexp_f64 v[15:16], v[15:16], v4
	v_cndmask_b32_e32 v4, 0, v61, vcc
	v_rsq_f64_e32 v[17:18], v[15:16]
	v_cmp_class_f64_e32 vcc, v[15:16], v59
	v_mul_f64 v[46:47], v[15:16], v[17:18]
	v_mul_f64 v[17:18], v[17:18], 0.5
	v_fma_f64 v[48:49], -v[17:18], v[46:47], 0.5
	v_fma_f64 v[46:47], v[46:47], v[48:49], v[46:47]
	v_fma_f64 v[17:18], v[17:18], v[48:49], v[17:18]
	v_fma_f64 v[48:49], -v[46:47], v[46:47], v[15:16]
	v_fma_f64 v[46:47], v[48:49], v[17:18], v[46:47]
	v_fma_f64 v[48:49], -v[46:47], v[46:47], v[15:16]
	v_fma_f64 v[17:18], v[48:49], v[17:18], v[46:47]
	v_ldexp_f64 v[17:18], v[17:18], v4
	v_cndmask_b32_e32 v16, v18, v16, vcc
	v_cndmask_b32_e32 v15, v17, v15, vcc
	v_div_scale_f64 v[17:18], s[16:17], v[15:16], v[15:16], 1.0
	v_div_scale_f64 v[50:51], vcc, 1.0, v[15:16], 1.0
	v_rcp_f64_e32 v[46:47], v[17:18]
	v_fma_f64 v[48:49], -v[17:18], v[46:47], 1.0
	v_fma_f64 v[46:47], v[46:47], v[48:49], v[46:47]
	v_fma_f64 v[48:49], -v[17:18], v[46:47], 1.0
	v_fma_f64 v[46:47], v[46:47], v[48:49], v[46:47]
	v_mul_f64 v[48:49], v[50:51], v[46:47]
	v_fma_f64 v[17:18], -v[17:18], v[48:49], v[50:51]
	v_div_fmas_f64 v[17:18], v[17:18], v[46:47], v[48:49]
	v_div_fixup_f64 v[46:47], v[17:18], v[15:16], 1.0
	v_mul_f64 v[48:49], v[0:1], v[46:47]
.LBB22_163:                             ;   in Loop: Header=BB22_159 Depth=3
	s_andn2_saveexec_b64 s[80:81], s[80:81]
	s_cbranch_execz .LBB22_165
; %bb.164:                              ;   in Loop: Header=BB22_159 Depth=3
	v_div_scale_f64 v[0:1], s[16:17], v[44:45], v[44:45], -v[32:33]
	v_rcp_f64_e32 v[15:16], v[0:1]
	v_fma_f64 v[17:18], -v[0:1], v[15:16], 1.0
	v_fma_f64 v[15:16], v[15:16], v[17:18], v[15:16]
	v_div_scale_f64 v[17:18], vcc, -v[32:33], v[44:45], -v[32:33]
	v_fma_f64 v[46:47], -v[0:1], v[15:16], 1.0
	v_fma_f64 v[15:16], v[15:16], v[46:47], v[15:16]
	v_mul_f64 v[46:47], v[17:18], v[15:16]
	v_fma_f64 v[0:1], -v[0:1], v[46:47], v[17:18]
	v_div_fmas_f64 v[0:1], v[0:1], v[15:16], v[46:47]
	v_div_fixup_f64 v[0:1], v[0:1], v[44:45], -v[32:33]
	v_fma_f64 v[15:16], v[0:1], v[0:1], 1.0
	v_cmp_gt_f64_e32 vcc, s[64:65], v[15:16]
	v_cndmask_b32_e32 v4, 0, v60, vcc
	v_ldexp_f64 v[15:16], v[15:16], v4
	v_cndmask_b32_e32 v4, 0, v61, vcc
	v_rsq_f64_e32 v[17:18], v[15:16]
	v_cmp_class_f64_e32 vcc, v[15:16], v59
	v_mul_f64 v[46:47], v[15:16], v[17:18]
	v_mul_f64 v[17:18], v[17:18], 0.5
	v_fma_f64 v[48:49], -v[17:18], v[46:47], 0.5
	v_fma_f64 v[46:47], v[46:47], v[48:49], v[46:47]
	v_fma_f64 v[17:18], v[17:18], v[48:49], v[17:18]
	v_fma_f64 v[48:49], -v[46:47], v[46:47], v[15:16]
	v_fma_f64 v[46:47], v[48:49], v[17:18], v[46:47]
	v_fma_f64 v[48:49], -v[46:47], v[46:47], v[15:16]
	v_fma_f64 v[17:18], v[48:49], v[17:18], v[46:47]
	v_ldexp_f64 v[17:18], v[17:18], v4
	v_cndmask_b32_e32 v16, v18, v16, vcc
	v_cndmask_b32_e32 v15, v17, v15, vcc
	v_div_scale_f64 v[17:18], s[16:17], v[15:16], v[15:16], 1.0
	v_div_scale_f64 v[50:51], vcc, 1.0, v[15:16], 1.0
	v_rcp_f64_e32 v[46:47], v[17:18]
	v_fma_f64 v[48:49], -v[17:18], v[46:47], 1.0
	v_fma_f64 v[46:47], v[46:47], v[48:49], v[46:47]
	v_fma_f64 v[48:49], -v[17:18], v[46:47], 1.0
	v_fma_f64 v[46:47], v[46:47], v[48:49], v[46:47]
	v_mul_f64 v[48:49], v[50:51], v[46:47]
	v_fma_f64 v[17:18], -v[17:18], v[48:49], v[50:51]
	v_div_fmas_f64 v[17:18], v[17:18], v[46:47], v[48:49]
	v_div_fixup_f64 v[48:49], v[17:18], v[15:16], 1.0
	v_mul_f64 v[46:47], v[0:1], v[48:49]
.LBB22_165:                             ;   in Loop: Header=BB22_159 Depth=3
	s_or_b64 exec, exec, s[80:81]
	v_mul_f64 v[0:1], v[44:45], v[48:49]
	v_fma_f64 v[50:51], v[32:33], v[46:47], -v[0:1]
.LBB22_166:                             ;   in Loop: Header=BB22_159 Depth=3
	s_andn2_saveexec_b64 s[78:79], s[78:79]
; %bb.167:                              ;   in Loop: Header=BB22_159 Depth=3
	v_mov_b32_e32 v46, 0
	v_mov_b32_e32 v48, 0
	;; [unrolled: 1-line block ×4, first 2 shown]
; %bb.168:                              ;   in Loop: Header=BB22_159 Depth=3
	s_or_b64 exec, exec, s[78:79]
	v_mov_b32_e32 v32, v50
	v_mov_b32_e32 v33, v51
.LBB22_169:                             ;   in Loop: Header=BB22_159 Depth=3
	s_or_b64 exec, exec, s[76:77]
	s_cmp_eq_u32 s27, 0
	s_cbranch_scc1 .LBB22_158
; %bb.170:                              ;   in Loop: Header=BB22_159 Depth=3
	global_store_dwordx2 v[38:39], v[32:33], off
	s_branch .LBB22_158
.LBB22_171:                             ;   in Loop: Header=BB22_133 Depth=2
	ds_write2_b32 v9, v3, v27 offset0:5 offset1:7
	s_cbranch_execz .LBB22_144
	s_branch .LBB22_145
.LBB22_172:                             ;   in Loop: Header=BB22_133 Depth=2
	s_or_b64 exec, exec, s[74:75]
	ds_write_b64 v9, v[34:35]
.LBB22_173:                             ;   in Loop: Header=BB22_133 Depth=2
	s_or_b64 exec, exec, s[72:73]
	global_load_dwordx2 v[43:44], v[28:29], off
.LBB22_174:                             ;   in Loop: Header=BB22_133 Depth=2
	s_or_b64 exec, exec, s[70:71]
	s_waitcnt vmcnt(0)
	v_add_f64 v[0:1], v[43:44], -v[34:35]
                                        ; implicit-def: $vgpr27
                                        ; implicit-def: $vgpr43_vgpr44
                                        ; implicit-def: $vgpr3
	global_store_dwordx2 v[28:29], v[0:1], off
	global_store_dwordx2 v[5:6], v[32:33], off offset:-8
                                        ; implicit-def: $vgpr28_vgpr29
                                        ; implicit-def: $vgpr31_vgpr32
.LBB22_175:                             ;   in Loop: Header=BB22_133 Depth=2
	s_andn2_saveexec_b64 s[70:71], s[6:7]
	s_cbranch_execz .LBB22_208
; %bb.176:                              ;   in Loop: Header=BB22_133 Depth=2
	v_ashrrev_i32_e32 v4, 31, v3
	v_lshlrev_b64 v[33:34], 3, v[3:4]
	v_mov_b32_e32 v1, s23
	v_add_co_u32_e32 v0, vcc, s22, v33
	v_addc_co_u32_e32 v1, vcc, v1, v34, vcc
	v_mov_b32_e32 v3, s92
	v_add_co_u32_e32 v5, vcc, s14, v33
	v_addc_co_u32_e32 v6, vcc, v3, v34, vcc
	global_load_dwordx2 v[3:4], v[0:1], off
	global_load_dwordx2 v[39:40], v[5:6], off
                                        ; implicit-def: $vgpr41_vgpr42
	s_waitcnt vmcnt(1)
	v_add_f64 v[37:38], v[3:4], -v[43:44]
	s_waitcnt vmcnt(0)
	v_add_f64 v[35:36], v[39:40], v[39:40]
	v_cmp_ngt_f64_e64 s[6:7], |v[37:38]|, |v[35:36]|
	s_and_saveexec_b64 s[16:17], s[6:7]
	s_xor_b64 s[6:7], exec, s[16:17]
	s_cbranch_execz .LBB22_182
; %bb.177:                              ;   in Loop: Header=BB22_133 Depth=2
	v_cmp_nlt_f64_e64 s[16:17], |v[37:38]|, |v[35:36]|
                                        ; implicit-def: $vgpr41_vgpr42
	s_and_saveexec_b64 s[72:73], s[16:17]
	s_xor_b64 s[72:73], exec, s[72:73]
; %bb.178:                              ;   in Loop: Header=BB22_133 Depth=2
	v_mul_f64 v[41:42], |v[35:36]|, s[84:85]
; %bb.179:                              ;   in Loop: Header=BB22_133 Depth=2
	s_andn2_saveexec_b64 s[72:73], s[72:73]
	s_cbranch_execz .LBB22_181
; %bb.180:                              ;   in Loop: Header=BB22_133 Depth=2
	v_and_b32_e32 v1, 0x7fffffff, v38
	v_mov_b32_e32 v0, v37
	v_and_b32_e32 v6, 0x7fffffff, v36
	v_mov_b32_e32 v5, v35
	v_div_scale_f64 v[15:16], s[16:17], v[5:6], v[5:6], v[0:1]
	v_div_scale_f64 v[0:1], vcc, v[0:1], v[5:6], v[0:1]
	v_rcp_f64_e32 v[17:18], v[15:16]
	v_fma_f64 v[41:42], -v[15:16], v[17:18], 1.0
	v_fma_f64 v[17:18], v[17:18], v[41:42], v[17:18]
	v_fma_f64 v[5:6], -v[15:16], v[17:18], 1.0
	v_fma_f64 v[5:6], v[17:18], v[5:6], v[17:18]
	v_mul_f64 v[17:18], v[0:1], v[5:6]
	v_fma_f64 v[0:1], -v[15:16], v[17:18], v[0:1]
	v_div_fmas_f64 v[0:1], v[0:1], v[5:6], v[17:18]
	v_div_fixup_f64 v[0:1], v[0:1], |v[35:36]|, |v[37:38]|
	v_fma_f64 v[0:1], v[0:1], v[0:1], 1.0
	v_cmp_gt_f64_e32 vcc, s[64:65], v[0:1]
	v_cndmask_b32_e32 v5, 0, v60, vcc
	v_ldexp_f64 v[0:1], v[0:1], v5
	v_cndmask_b32_e32 v10, 0, v61, vcc
	v_rsq_f64_e32 v[5:6], v[0:1]
	v_cmp_class_f64_e32 vcc, v[0:1], v59
	v_mul_f64 v[15:16], v[0:1], v[5:6]
	v_mul_f64 v[5:6], v[5:6], 0.5
	v_fma_f64 v[17:18], -v[5:6], v[15:16], 0.5
	v_fma_f64 v[15:16], v[15:16], v[17:18], v[15:16]
	v_fma_f64 v[5:6], v[5:6], v[17:18], v[5:6]
	v_fma_f64 v[17:18], -v[15:16], v[15:16], v[0:1]
	v_fma_f64 v[15:16], v[17:18], v[5:6], v[15:16]
	v_fma_f64 v[17:18], -v[15:16], v[15:16], v[0:1]
	v_fma_f64 v[5:6], v[17:18], v[5:6], v[15:16]
	v_ldexp_f64 v[5:6], v[5:6], v10
	v_cndmask_b32_e32 v1, v6, v1, vcc
	v_cndmask_b32_e32 v0, v5, v0, vcc
	v_mul_f64 v[41:42], |v[35:36]|, v[0:1]
.LBB22_181:                             ;   in Loop: Header=BB22_133 Depth=2
	s_or_b64 exec, exec, s[72:73]
.LBB22_182:                             ;   in Loop: Header=BB22_133 Depth=2
	s_andn2_saveexec_b64 s[6:7], s[6:7]
	s_cbranch_execz .LBB22_184
; %bb.183:                              ;   in Loop: Header=BB22_133 Depth=2
	v_and_b32_e32 v1, 0x7fffffff, v36
	v_mov_b32_e32 v0, v35
	v_and_b32_e32 v6, 0x7fffffff, v38
	v_mov_b32_e32 v5, v37
	v_div_scale_f64 v[15:16], s[16:17], v[5:6], v[5:6], v[0:1]
	v_div_scale_f64 v[0:1], vcc, v[0:1], v[5:6], v[0:1]
	v_rcp_f64_e32 v[17:18], v[15:16]
	v_fma_f64 v[41:42], -v[15:16], v[17:18], 1.0
	v_fma_f64 v[17:18], v[17:18], v[41:42], v[17:18]
	v_fma_f64 v[5:6], -v[15:16], v[17:18], 1.0
	v_fma_f64 v[5:6], v[17:18], v[5:6], v[17:18]
	v_mul_f64 v[17:18], v[0:1], v[5:6]
	v_fma_f64 v[0:1], -v[15:16], v[17:18], v[0:1]
	v_div_fmas_f64 v[0:1], v[0:1], v[5:6], v[17:18]
	v_div_fixup_f64 v[0:1], v[0:1], |v[37:38]|, |v[35:36]|
	v_fma_f64 v[0:1], v[0:1], v[0:1], 1.0
	v_cmp_gt_f64_e32 vcc, s[64:65], v[0:1]
	v_cndmask_b32_e32 v5, 0, v60, vcc
	v_ldexp_f64 v[0:1], v[0:1], v5
	v_cndmask_b32_e32 v10, 0, v61, vcc
	v_rsq_f64_e32 v[5:6], v[0:1]
	v_cmp_class_f64_e32 vcc, v[0:1], v59
	v_mul_f64 v[15:16], v[0:1], v[5:6]
	v_mul_f64 v[5:6], v[5:6], 0.5
	v_fma_f64 v[17:18], -v[5:6], v[15:16], 0.5
	v_fma_f64 v[15:16], v[15:16], v[17:18], v[15:16]
	v_fma_f64 v[5:6], v[5:6], v[17:18], v[5:6]
	v_fma_f64 v[17:18], -v[15:16], v[15:16], v[0:1]
	v_fma_f64 v[15:16], v[17:18], v[5:6], v[15:16]
	v_fma_f64 v[17:18], -v[15:16], v[15:16], v[0:1]
	v_fma_f64 v[5:6], v[17:18], v[5:6], v[15:16]
	v_ldexp_f64 v[5:6], v[5:6], v10
	v_cndmask_b32_e32 v1, v6, v1, vcc
	v_cndmask_b32_e32 v0, v5, v0, vcc
	v_mul_f64 v[41:42], |v[37:38]|, v[0:1]
.LBB22_184:                             ;   in Loop: Header=BB22_133 Depth=2
	s_or_b64 exec, exec, s[6:7]
	v_add_f64 v[47:48], v[43:44], v[3:4]
	v_cmp_gt_f64_e64 vcc, |v[3:4]|, |v[43:44]|
	v_cmp_ngt_f64_e64 s[6:7], 0, v[47:48]
	v_cndmask_b32_e32 v46, v4, v44, vcc
	v_cndmask_b32_e32 v45, v3, v43, vcc
	;; [unrolled: 1-line block ×4, first 2 shown]
                                        ; implicit-def: $vgpr5_vgpr6
	s_and_saveexec_b64 s[16:17], s[6:7]
	s_xor_b64 s[6:7], exec, s[16:17]
	s_cbranch_execz .LBB22_190
; %bb.185:                              ;   in Loop: Header=BB22_133 Depth=2
	v_cmp_nlt_f64_e32 vcc, 0, v[47:48]
                                        ; implicit-def: $vgpr5_vgpr6
	s_and_saveexec_b64 s[16:17], vcc
	s_xor_b64 s[72:73], exec, s[16:17]
	s_cbranch_execz .LBB22_187
; %bb.186:                              ;   in Loop: Header=BB22_133 Depth=2
	v_mul_f64 v[3:4], v[41:42], 0.5
	v_mul_f64 v[5:6], v[41:42], -0.5
                                        ; implicit-def: $vgpr47_vgpr48
                                        ; implicit-def: $vgpr43_vgpr44
                                        ; implicit-def: $vgpr39_vgpr40
                                        ; implicit-def: $vgpr45_vgpr46
.LBB22_187:                             ;   in Loop: Header=BB22_133 Depth=2
	s_andn2_saveexec_b64 s[72:73], s[72:73]
	s_cbranch_execz .LBB22_189
; %bb.188:                              ;   in Loop: Header=BB22_133 Depth=2
	v_add_f64 v[0:1], v[47:48], v[41:42]
	v_mul_f64 v[3:4], v[0:1], 0.5
	v_div_scale_f64 v[0:1], s[16:17], v[3:4], v[3:4], v[43:44]
	v_rcp_f64_e32 v[5:6], v[0:1]
	v_fma_f64 v[15:16], -v[0:1], v[5:6], 1.0
	v_fma_f64 v[5:6], v[5:6], v[15:16], v[5:6]
	v_fma_f64 v[15:16], -v[0:1], v[5:6], 1.0
	v_fma_f64 v[5:6], v[5:6], v[15:16], v[5:6]
	v_div_scale_f64 v[15:16], vcc, v[43:44], v[3:4], v[43:44]
	v_mul_f64 v[17:18], v[15:16], v[5:6]
	v_fma_f64 v[0:1], -v[0:1], v[17:18], v[15:16]
	s_nop 1
	v_div_fmas_f64 v[0:1], v[0:1], v[5:6], v[17:18]
	v_div_scale_f64 v[5:6], s[16:17], v[3:4], v[3:4], v[39:40]
	v_div_fixup_f64 v[0:1], v[0:1], v[3:4], v[43:44]
	v_rcp_f64_e32 v[15:16], v[5:6]
	v_fma_f64 v[17:18], -v[5:6], v[15:16], 1.0
	v_fma_f64 v[15:16], v[15:16], v[17:18], v[15:16]
	v_fma_f64 v[17:18], -v[5:6], v[15:16], 1.0
	v_fma_f64 v[15:16], v[15:16], v[17:18], v[15:16]
	v_div_scale_f64 v[17:18], vcc, v[39:40], v[3:4], v[39:40]
	v_mul_f64 v[43:44], v[17:18], v[15:16]
	v_fma_f64 v[5:6], -v[5:6], v[43:44], v[17:18]
	s_nop 1
	v_div_fmas_f64 v[5:6], v[5:6], v[15:16], v[43:44]
	v_div_fixup_f64 v[5:6], v[5:6], v[3:4], v[39:40]
	v_mul_f64 v[5:6], v[39:40], v[5:6]
	v_fma_f64 v[5:6], v[45:46], v[0:1], -v[5:6]
.LBB22_189:                             ;   in Loop: Header=BB22_133 Depth=2
	s_or_b64 exec, exec, s[72:73]
                                        ; implicit-def: $vgpr47_vgpr48
                                        ; implicit-def: $vgpr43_vgpr44
                                        ; implicit-def: $vgpr39_vgpr40
                                        ; implicit-def: $vgpr45_vgpr46
.LBB22_190:                             ;   in Loop: Header=BB22_133 Depth=2
	s_or_saveexec_b64 s[6:7], s[6:7]
	v_mov_b32_e32 v10, 1
	s_xor_b64 exec, exec, s[6:7]
	s_cbranch_execz .LBB22_192
; %bb.191:                              ;   in Loop: Header=BB22_133 Depth=2
	v_add_f64 v[0:1], v[47:48], -v[41:42]
	v_mov_b32_e32 v10, -1
	v_mul_f64 v[3:4], v[0:1], 0.5
	v_div_scale_f64 v[0:1], s[16:17], v[3:4], v[3:4], v[43:44]
	v_rcp_f64_e32 v[5:6], v[0:1]
	v_fma_f64 v[15:16], -v[0:1], v[5:6], 1.0
	v_fma_f64 v[5:6], v[5:6], v[15:16], v[5:6]
	v_fma_f64 v[15:16], -v[0:1], v[5:6], 1.0
	v_fma_f64 v[5:6], v[5:6], v[15:16], v[5:6]
	v_div_scale_f64 v[15:16], vcc, v[43:44], v[3:4], v[43:44]
	v_mul_f64 v[17:18], v[15:16], v[5:6]
	v_fma_f64 v[0:1], -v[0:1], v[17:18], v[15:16]
	s_nop 1
	v_div_fmas_f64 v[0:1], v[0:1], v[5:6], v[17:18]
	v_div_scale_f64 v[5:6], s[16:17], v[3:4], v[3:4], v[39:40]
	v_div_fixup_f64 v[0:1], v[0:1], v[3:4], v[43:44]
	v_rcp_f64_e32 v[15:16], v[5:6]
	v_fma_f64 v[17:18], -v[5:6], v[15:16], 1.0
	v_fma_f64 v[15:16], v[15:16], v[17:18], v[15:16]
	v_fma_f64 v[17:18], -v[5:6], v[15:16], 1.0
	v_fma_f64 v[15:16], v[15:16], v[17:18], v[15:16]
	v_div_scale_f64 v[17:18], vcc, v[39:40], v[3:4], v[39:40]
	v_mul_f64 v[43:44], v[17:18], v[15:16]
	v_fma_f64 v[5:6], -v[5:6], v[43:44], v[17:18]
	s_nop 1
	v_div_fmas_f64 v[5:6], v[5:6], v[15:16], v[43:44]
	v_div_fixup_f64 v[5:6], v[5:6], v[3:4], v[39:40]
	v_mul_f64 v[5:6], v[39:40], v[5:6]
	v_fma_f64 v[5:6], v[45:46], v[0:1], -v[5:6]
.LBB22_192:                             ;   in Loop: Header=BB22_133 Depth=2
	s_or_b64 exec, exec, s[6:7]
	v_cmp_nle_f64_e64 s[6:7], 0, v[37:38]
	v_xor_b32_e32 v0, 0x80000000, v42
                                        ; implicit-def: $vgpr39_vgpr40
	v_cndmask_b32_e64 v42, v42, v0, s[6:7]
	v_add_f64 v[37:38], v[37:38], v[41:42]
                                        ; implicit-def: $vgpr41_vgpr42
	v_cmp_ngt_f64_e64 s[16:17], |v[37:38]|, |v[35:36]|
	s_and_saveexec_b64 s[72:73], s[16:17]
	s_xor_b64 s[72:73], exec, s[72:73]
	s_cbranch_execz .LBB22_196
; %bb.193:                              ;   in Loop: Header=BB22_133 Depth=2
	v_cmp_neq_f64_e32 vcc, 0, v[35:36]
	v_mov_b32_e32 v39, 0
	v_mov_b32_e32 v41, 0
	;; [unrolled: 1-line block ×4, first 2 shown]
	s_and_saveexec_b64 s[74:75], vcc
	s_cbranch_execz .LBB22_195
; %bb.194:                              ;   in Loop: Header=BB22_133 Depth=2
	v_div_scale_f64 v[0:1], s[16:17], v[35:36], v[35:36], -v[37:38]
	v_rcp_f64_e32 v[15:16], v[0:1]
	v_fma_f64 v[17:18], -v[0:1], v[15:16], 1.0
	v_fma_f64 v[15:16], v[15:16], v[17:18], v[15:16]
	v_div_scale_f64 v[17:18], vcc, -v[37:38], v[35:36], -v[37:38]
	v_fma_f64 v[39:40], -v[0:1], v[15:16], 1.0
	v_fma_f64 v[15:16], v[15:16], v[39:40], v[15:16]
	v_mul_f64 v[39:40], v[17:18], v[15:16]
	v_fma_f64 v[0:1], -v[0:1], v[39:40], v[17:18]
	v_div_fmas_f64 v[0:1], v[0:1], v[15:16], v[39:40]
	v_div_fixup_f64 v[0:1], v[0:1], v[35:36], -v[37:38]
	v_fma_f64 v[15:16], v[0:1], v[0:1], 1.0
	v_cmp_gt_f64_e32 vcc, s[64:65], v[15:16]
	v_cndmask_b32_e32 v17, 0, v60, vcc
	v_ldexp_f64 v[15:16], v[15:16], v17
	v_cndmask_b32_e32 v30, 0, v61, vcc
	v_rsq_f64_e32 v[17:18], v[15:16]
	v_cmp_class_f64_e32 vcc, v[15:16], v59
	v_mul_f64 v[35:36], v[15:16], v[17:18]
	v_mul_f64 v[17:18], v[17:18], 0.5
	v_fma_f64 v[37:38], -v[17:18], v[35:36], 0.5
	v_fma_f64 v[35:36], v[35:36], v[37:38], v[35:36]
	v_fma_f64 v[17:18], v[17:18], v[37:38], v[17:18]
	v_fma_f64 v[37:38], -v[35:36], v[35:36], v[15:16]
	v_fma_f64 v[35:36], v[37:38], v[17:18], v[35:36]
	v_fma_f64 v[37:38], -v[35:36], v[35:36], v[15:16]
	v_fma_f64 v[17:18], v[37:38], v[17:18], v[35:36]
	v_ldexp_f64 v[17:18], v[17:18], v30
	v_cndmask_b32_e32 v16, v18, v16, vcc
	v_cndmask_b32_e32 v15, v17, v15, vcc
	v_div_scale_f64 v[17:18], s[16:17], v[15:16], v[15:16], 1.0
	v_div_scale_f64 v[39:40], vcc, 1.0, v[15:16], 1.0
	v_rcp_f64_e32 v[35:36], v[17:18]
	v_fma_f64 v[37:38], -v[17:18], v[35:36], 1.0
	v_fma_f64 v[35:36], v[35:36], v[37:38], v[35:36]
	v_fma_f64 v[37:38], -v[17:18], v[35:36], 1.0
	v_fma_f64 v[35:36], v[35:36], v[37:38], v[35:36]
	v_mul_f64 v[37:38], v[39:40], v[35:36]
	v_fma_f64 v[17:18], -v[17:18], v[37:38], v[39:40]
	v_div_fmas_f64 v[17:18], v[17:18], v[35:36], v[37:38]
	v_div_fixup_f64 v[41:42], v[17:18], v[15:16], 1.0
	v_mul_f64 v[39:40], v[0:1], v[41:42]
.LBB22_195:                             ;   in Loop: Header=BB22_133 Depth=2
	s_or_b64 exec, exec, s[74:75]
                                        ; implicit-def: $vgpr37_vgpr38
                                        ; implicit-def: $vgpr35_vgpr36
.LBB22_196:                             ;   in Loop: Header=BB22_133 Depth=2
	s_andn2_saveexec_b64 s[72:73], s[72:73]
	s_cbranch_execz .LBB22_198
; %bb.197:                              ;   in Loop: Header=BB22_133 Depth=2
	v_div_scale_f64 v[0:1], s[16:17], v[37:38], v[37:38], -v[35:36]
	v_rcp_f64_e32 v[15:16], v[0:1]
	v_fma_f64 v[17:18], -v[0:1], v[15:16], 1.0
	v_fma_f64 v[15:16], v[15:16], v[17:18], v[15:16]
	v_div_scale_f64 v[17:18], vcc, -v[35:36], v[37:38], -v[35:36]
	v_fma_f64 v[39:40], -v[0:1], v[15:16], 1.0
	v_fma_f64 v[15:16], v[15:16], v[39:40], v[15:16]
	v_mul_f64 v[39:40], v[17:18], v[15:16]
	v_fma_f64 v[0:1], -v[0:1], v[39:40], v[17:18]
	v_div_fmas_f64 v[0:1], v[0:1], v[15:16], v[39:40]
	v_div_fixup_f64 v[0:1], v[0:1], v[37:38], -v[35:36]
	v_fma_f64 v[15:16], v[0:1], v[0:1], 1.0
	v_cmp_gt_f64_e32 vcc, s[64:65], v[15:16]
	v_cndmask_b32_e32 v17, 0, v60, vcc
	v_ldexp_f64 v[15:16], v[15:16], v17
	v_cndmask_b32_e32 v30, 0, v61, vcc
	v_rsq_f64_e32 v[17:18], v[15:16]
	v_cmp_class_f64_e32 vcc, v[15:16], v59
	v_mul_f64 v[35:36], v[15:16], v[17:18]
	v_mul_f64 v[17:18], v[17:18], 0.5
	v_fma_f64 v[37:38], -v[17:18], v[35:36], 0.5
	v_fma_f64 v[35:36], v[35:36], v[37:38], v[35:36]
	v_fma_f64 v[17:18], v[17:18], v[37:38], v[17:18]
	v_fma_f64 v[37:38], -v[35:36], v[35:36], v[15:16]
	v_fma_f64 v[35:36], v[37:38], v[17:18], v[35:36]
	v_fma_f64 v[37:38], -v[35:36], v[35:36], v[15:16]
	v_fma_f64 v[17:18], v[37:38], v[17:18], v[35:36]
	v_ldexp_f64 v[17:18], v[17:18], v30
	v_cndmask_b32_e32 v16, v18, v16, vcc
	v_cndmask_b32_e32 v15, v17, v15, vcc
	v_div_scale_f64 v[17:18], s[16:17], v[15:16], v[15:16], 1.0
	v_div_scale_f64 v[39:40], vcc, 1.0, v[15:16], 1.0
	v_rcp_f64_e32 v[35:36], v[17:18]
	v_fma_f64 v[37:38], -v[17:18], v[35:36], 1.0
	v_fma_f64 v[35:36], v[35:36], v[37:38], v[35:36]
	v_fma_f64 v[37:38], -v[17:18], v[35:36], 1.0
	v_fma_f64 v[35:36], v[35:36], v[37:38], v[35:36]
	v_mul_f64 v[37:38], v[39:40], v[35:36]
	v_fma_f64 v[17:18], -v[17:18], v[37:38], v[39:40]
	v_div_fmas_f64 v[17:18], v[17:18], v[35:36], v[37:38]
	v_div_fixup_f64 v[39:40], v[17:18], v[15:16], 1.0
	v_mul_f64 v[41:42], v[0:1], v[39:40]
.LBB22_198:                             ;   in Loop: Header=BB22_133 Depth=2
	s_or_b64 exec, exec, s[72:73]
	v_cndmask_b32_e64 v0, 1, -1, s[6:7]
	v_xor_b32_e32 v1, 0x80000000, v40
	v_cmp_eq_u32_e32 vcc, v10, v0
	v_cndmask_b32_e32 v1, v42, v1, vcc
	v_cndmask_b32_e32 v0, v41, v39, vcc
	;; [unrolled: 1-line block ×4, first 2 shown]
	v_mov_b32_e32 v10, s66
	v_add_co_u32_e32 v17, vcc, s95, v33
	v_addc_co_u32_e32 v18, vcc, v10, v34, vcc
	global_store_dwordx2 v[17:18], v[0:1], off
	v_mov_b32_e32 v1, s51
	v_add_co_u32_e32 v0, vcc, s50, v17
	v_addc_co_u32_e32 v1, vcc, v18, v1, vcc
	global_store_dwordx2 v[0:1], v[15:16], off offset:-8
	global_store_dwordx4 v[28:29], v[3:6], off offset:-8
	v_mov_b32_e32 v1, s92
	v_add_co_u32_e32 v0, vcc, s14, v31
	v_addc_co_u32_e32 v1, vcc, v1, v32, vcc
	v_mov_b32_e32 v10, v9
	global_store_dwordx2 v[0:1], v[9:10], off offset:-8
	v_add_u32_e32 v0, -2, v27
	ds_write_b32 v9, v0 offset:16
	s_or_b64 exec, exec, s[70:71]
                                        ; implicit-def: $vgpr4
.LBB22_199:                             ;   in Loop: Header=BB22_133 Depth=2
	s_andn2_saveexec_b64 s[6:7], s[68:69]
.LBB22_200:                             ;   in Loop: Header=BB22_133 Depth=2
	ds_write_b32 v9, v4 offset:16
.LBB22_201:                             ;   in Loop: Header=BB22_133 Depth=2
	s_or_b64 exec, exec, s[6:7]
.LBB22_202:                             ;   in Loop: Header=BB22_133 Depth=2
	s_or_b64 exec, exec, s[8:9]
	s_waitcnt vmcnt(0) lgkmcnt(0)
	s_barrier
	ds_read_b64 v[0:1], v9 offset:16
	s_waitcnt lgkmcnt(0)
	v_readfirstlane_b32 s8, v1
	v_cmp_eq_u32_e32 vcc, s8, v0
	v_mov_b32_e32 v27, s8
	s_cbranch_vccnz .LBB22_132
; %bb.203:                              ;   in Loop: Header=BB22_133 Depth=2
	s_and_saveexec_b64 s[6:7], s[2:3]
	s_cbranch_execz .LBB22_131
; %bb.204:                              ;   in Loop: Header=BB22_133 Depth=2
	ds_read_b32 v0, v9 offset:28
	s_ashr_i32 s9, s8, 31
	s_lshl_b64 s[68:69], s[8:9], 3
	s_mul_i32 s16, s8, s15
	v_mov_b32_e32 v29, v7
	s_waitcnt lgkmcnt(0)
	v_readfirstlane_b32 s9, v0
	s_sub_i32 s27, s9, s8
	s_add_u32 s8, s95, s68
	s_addc_u32 s9, s66, s69
	s_ashr_i32 s17, s16, 31
	s_lshl_b64 s[16:17], s[16:17], 4
	s_add_u32 s41, s93, s16
	s_addc_u32 s62, s94, s17
	s_cmp_gt_i32 s27, 0
	s_mul_hi_i32 s71, s27, s46
	s_mul_i32 s70, s27, s46
	s_cselect_b64 s[68:69], -1, 0
	s_lshl_b64 s[70:71], s[70:71], 4
	s_add_u32 s74, s41, s70
	v_mov_b32_e32 v0, s17
	v_add_co_u32_e32 v27, vcc, s16, v8
	s_addc_u32 s75, s62, s71
	v_addc_co_u32_e32 v28, vcc, v58, v0, vcc
	s_mov_b64 s[70:71], 0
	s_branch .LBB22_206
.LBB22_205:                             ;   in Loop: Header=BB22_206 Depth=3
	v_mov_b32_e32 v1, s75
	v_add_co_u32_e32 v0, vcc, s74, v30
	v_addc_co_u32_e32 v1, vcc, v1, v31, vcc
	v_add_u32_e32 v29, s36, v29
	v_cmp_le_i32_e32 vcc, s10, v29
	s_waitcnt vmcnt(0)
	global_store_dwordx4 v[0:1], v[3:6], off
	v_mov_b32_e32 v0, s61
	s_or_b64 s[70:71], vcc, s[70:71]
	v_add_co_u32_e32 v27, vcc, s60, v27
	v_addc_co_u32_e32 v28, vcc, v28, v0, vcc
	s_andn2_b64 exec, exec, s[70:71]
	s_cbranch_execz .LBB22_131
.LBB22_206:                             ;   Parent Loop BB22_7 Depth=1
                                        ;     Parent Loop BB22_133 Depth=2
                                        ; =>    This Loop Header: Depth=3
                                        ;         Child Loop BB22_207 Depth 4
	v_ashrrev_i32_e32 v30, 31, v29
	v_lshlrev_b64 v[30:31], 4, v[29:30]
	v_mov_b32_e32 v1, s62
	v_add_co_u32_e32 v0, vcc, s41, v30
	v_addc_co_u32_e32 v1, vcc, v1, v31, vcc
	global_load_dwordx4 v[3:6], v[0:1], off
	v_mov_b32_e32 v33, v28
	s_andn2_b64 vcc, exec, s[68:69]
	s_mov_b64 s[72:73], s[8:9]
	v_mov_b32_e32 v32, v27
	s_mov_b32 s76, s27
	s_cbranch_vccnz .LBB22_205
.LBB22_207:                             ;   Parent Loop BB22_7 Depth=1
                                        ;     Parent Loop BB22_133 Depth=2
                                        ;       Parent Loop BB22_206 Depth=3
                                        ; =>      This Inner Loop Header: Depth=4
	v_mov_b32_e32 v1, s59
	v_add_co_u32_e32 v0, vcc, s58, v32
	s_add_u32 s16, s72, s11
	v_addc_co_u32_e32 v1, vcc, v33, v1, vcc
	s_addc_u32 s17, s73, s55
	global_load_dwordx4 v[34:37], v[0:1], off offset:-8
	global_load_dwordx2 v[15:16], v9, s[16:17]
	global_load_dwordx2 v[17:18], v9, s[72:73]
	s_add_i32 s76, s76, -1
	s_add_u32 s72, s72, 8
	s_addc_u32 s73, s73, 0
	s_cmp_eq_u32 s76, 0
	s_waitcnt vmcnt(1)
	v_mul_f64 v[38:39], v[15:16], v[34:35]
	v_mul_f64 v[40:41], v[15:16], v[36:37]
	v_mul_f64 v[42:43], v[3:4], v[15:16]
	v_mul_f64 v[15:16], v[5:6], v[15:16]
	s_waitcnt vmcnt(0)
	v_fma_f64 v[38:39], v[3:4], v[17:18], v[38:39]
	v_fma_f64 v[40:41], v[5:6], v[17:18], v[40:41]
	v_fma_f64 v[3:4], v[17:18], v[34:35], -v[42:43]
	v_fma_f64 v[5:6], v[17:18], v[36:37], -v[15:16]
	global_store_dwordx4 v[32:33], v[38:41], off offset:-8
	v_mov_b32_e32 v33, v1
	v_mov_b32_e32 v32, v0
	s_cbranch_scc0 .LBB22_207
	s_branch .LBB22_205
.LBB22_208:                             ;   in Loop: Header=BB22_133 Depth=2
	s_or_b64 exec, exec, s[70:71]
                                        ; implicit-def: $vgpr4
	s_andn2_saveexec_b64 s[6:7], s[68:69]
	s_cbranch_execnz .LBB22_200
	s_branch .LBB22_201
.LBB22_209:                             ;   in Loop: Header=BB22_7 Depth=1
	s_waitcnt vmcnt(0)
	buffer_store_dword v28, off, s[96:99], 0 ; 4-byte Folded Spill
	buffer_store_dword v31, off, s[96:99], 0 offset:4 ; 4-byte Folded Spill
	s_nop 0
	buffer_store_dword v32, off, s[96:99], 0 offset:8 ; 4-byte Folded Spill
	buffer_store_dword v33, off, s[96:99], 0 offset:12 ; 4-byte Folded Spill
	s_nop 0
	buffer_store_dword v34, off, s[96:99], 0 offset:16 ; 4-byte Folded Spill
.LBB22_210:                             ;   in Loop: Header=BB22_7 Depth=1
	s_waitcnt vmcnt(0)
	s_barrier
	ds_read_b64 v[3:4], v9 offset:8
	s_waitcnt lgkmcnt(0)
	v_cmp_nlt_f64_e32 vcc, s[44:45], v[3:4]
	s_cbranch_vccnz .LBB22_217
; %bb.211:                              ;   in Loop: Header=BB22_7 Depth=1
	v_div_scale_f64 v[0:1], s[6:7], v[3:4], v[3:4], s[44:45]
	v_div_scale_f64 v[17:18], vcc, s[44:45], v[3:4], s[44:45]
	ds_read2_b32 v[27:28], v9 offset0:7 offset1:10
	v_rcp_f64_e32 v[5:6], v[0:1]
	v_fma_f64 v[15:16], -v[0:1], v[5:6], 1.0
	v_fma_f64 v[5:6], v[5:6], v[15:16], v[5:6]
	v_fma_f64 v[15:16], -v[0:1], v[5:6], 1.0
	v_fma_f64 v[5:6], v[5:6], v[15:16], v[5:6]
	v_mul_f64 v[15:16], v[17:18], v[5:6]
	v_fma_f64 v[0:1], -v[0:1], v[15:16], v[17:18]
	v_div_fmas_f64 v[0:1], v[0:1], v[5:6], v[15:16]
	v_div_fixup_f64 v[5:6], v[0:1], v[3:4], s[44:45]
	s_and_saveexec_b64 s[6:7], s[0:1]
	s_cbranch_execz .LBB22_213
; %bb.212:                              ;   in Loop: Header=BB22_7 Depth=1
	s_waitcnt lgkmcnt(0)
	v_ashrrev_i32_e32 v1, 31, v28
	v_mov_b32_e32 v0, v28
	v_lshlrev_b64 v[0:1], 3, v[0:1]
	v_mov_b32_e32 v10, s23
	v_add_co_u32_e32 v0, vcc, s22, v0
	v_addc_co_u32_e32 v1, vcc, v10, v1, vcc
	global_load_dwordx2 v[15:16], v[0:1], off
	s_waitcnt vmcnt(0)
	v_mul_f64 v[15:16], v[5:6], v[15:16]
	global_store_dwordx2 v[0:1], v[15:16], off
.LBB22_213:                             ;   in Loop: Header=BB22_7 Depth=1
	s_or_b64 exec, exec, s[6:7]
	s_waitcnt lgkmcnt(0)
	v_add_u32_e32 v29, v27, v7
	v_cmp_lt_i32_e32 vcc, v29, v28
	s_and_saveexec_b64 s[6:7], vcc
	s_cbranch_execz .LBB22_216
; %bb.214:                              ;   in Loop: Header=BB22_7 Depth=1
	v_ashrrev_i32_e32 v30, 31, v29
	v_lshlrev_b64 v[30:31], 3, v[29:30]
	s_mov_b64 s[8:9], 0
.LBB22_215:                             ;   Parent Loop BB22_7 Depth=1
                                        ; =>  This Inner Loop Header: Depth=2
	v_mov_b32_e32 v1, s23
	v_add_co_u32_e32 v0, vcc, s22, v30
	v_addc_co_u32_e32 v1, vcc, v1, v31, vcc
	global_load_dwordx2 v[15:16], v[0:1], off
	v_mov_b32_e32 v10, s92
	v_add_co_u32_e32 v17, vcc, s14, v30
	v_addc_co_u32_e32 v18, vcc, v10, v31, vcc
	v_mov_b32_e32 v10, s49
	v_add_co_u32_e32 v30, vcc, s48, v30
	v_add_u32_e32 v29, s36, v29
	v_addc_co_u32_e32 v31, vcc, v31, v10, vcc
	v_cmp_ge_i32_e32 vcc, v29, v28
	s_or_b64 s[8:9], vcc, s[8:9]
	s_waitcnt vmcnt(0)
	v_mul_f64 v[15:16], v[5:6], v[15:16]
	global_store_dwordx2 v[0:1], v[15:16], off
	global_load_dwordx2 v[0:1], v[17:18], off
	s_waitcnt vmcnt(0)
	v_mul_f64 v[0:1], v[5:6], v[0:1]
	global_store_dwordx2 v[17:18], v[0:1], off
	s_andn2_b64 exec, exec, s[8:9]
	s_cbranch_execnz .LBB22_215
.LBB22_216:                             ;   in Loop: Header=BB22_7 Depth=1
	s_or_b64 exec, exec, s[6:7]
.LBB22_217:                             ;   in Loop: Header=BB22_7 Depth=1
	v_cmp_ngt_f64_e32 vcc, s[30:31], v[3:4]
	s_cbranch_vccnz .LBB22_5
; %bb.218:                              ;   in Loop: Header=BB22_7 Depth=1
	v_div_scale_f64 v[0:1], s[6:7], v[3:4], v[3:4], s[30:31]
	v_div_scale_f64 v[17:18], vcc, s[30:31], v[3:4], s[30:31]
	v_rcp_f64_e32 v[5:6], v[0:1]
	v_fma_f64 v[15:16], -v[0:1], v[5:6], 1.0
	v_fma_f64 v[5:6], v[5:6], v[15:16], v[5:6]
	v_fma_f64 v[15:16], -v[0:1], v[5:6], 1.0
	v_fma_f64 v[5:6], v[5:6], v[15:16], v[5:6]
	v_mul_f64 v[15:16], v[17:18], v[5:6]
	v_fma_f64 v[0:1], -v[0:1], v[15:16], v[17:18]
	v_div_fmas_f64 v[0:1], v[0:1], v[5:6], v[15:16]
	ds_read2_b32 v[5:6], v9 offset0:7 offset1:10
	v_div_fixup_f64 v[3:4], v[0:1], v[3:4], s[30:31]
	s_and_saveexec_b64 s[6:7], s[0:1]
	s_cbranch_execz .LBB22_220
; %bb.219:                              ;   in Loop: Header=BB22_7 Depth=1
	s_waitcnt lgkmcnt(0)
	v_ashrrev_i32_e32 v1, 31, v6
	v_mov_b32_e32 v0, v6
	v_lshlrev_b64 v[0:1], 3, v[0:1]
	v_mov_b32_e32 v10, s23
	v_add_co_u32_e32 v0, vcc, s22, v0
	v_addc_co_u32_e32 v1, vcc, v10, v1, vcc
	global_load_dwordx2 v[15:16], v[0:1], off
	s_waitcnt vmcnt(0)
	v_mul_f64 v[15:16], v[3:4], v[15:16]
	global_store_dwordx2 v[0:1], v[15:16], off
.LBB22_220:                             ;   in Loop: Header=BB22_7 Depth=1
	s_or_b64 exec, exec, s[6:7]
	s_waitcnt lgkmcnt(0)
	v_add_u32_e32 v27, v5, v7
	v_cmp_lt_i32_e32 vcc, v27, v6
	s_and_saveexec_b64 s[6:7], vcc
	s_cbranch_execz .LBB22_4
; %bb.221:                              ;   in Loop: Header=BB22_7 Depth=1
	v_ashrrev_i32_e32 v28, 31, v27
	v_lshlrev_b64 v[28:29], 3, v[27:28]
	s_mov_b64 s[8:9], 0
.LBB22_222:                             ;   Parent Loop BB22_7 Depth=1
                                        ; =>  This Inner Loop Header: Depth=2
	v_mov_b32_e32 v1, s23
	v_add_co_u32_e32 v0, vcc, s22, v28
	v_addc_co_u32_e32 v1, vcc, v1, v29, vcc
	global_load_dwordx2 v[15:16], v[0:1], off
	v_mov_b32_e32 v5, s92
	v_add_co_u32_e32 v17, vcc, s14, v28
	v_addc_co_u32_e32 v18, vcc, v5, v29, vcc
	v_mov_b32_e32 v5, s49
	v_add_co_u32_e32 v28, vcc, s48, v28
	v_add_u32_e32 v27, s36, v27
	v_addc_co_u32_e32 v29, vcc, v29, v5, vcc
	v_cmp_ge_i32_e32 vcc, v27, v6
	s_or_b64 s[8:9], vcc, s[8:9]
	s_waitcnt vmcnt(0)
	v_mul_f64 v[15:16], v[3:4], v[15:16]
	global_store_dwordx2 v[0:1], v[15:16], off
	global_load_dwordx2 v[0:1], v[17:18], off
	s_waitcnt vmcnt(0)
	v_mul_f64 v[0:1], v[3:4], v[0:1]
	global_store_dwordx2 v[17:18], v[0:1], off
	s_andn2_b64 exec, exec, s[8:9]
	s_cbranch_execnz .LBB22_222
	s_branch .LBB22_4
.LBB22_223:
	v_cmp_gt_i32_e32 vcc, s40, v7
	s_and_saveexec_b64 s[2:3], vcc
	s_cbranch_execz .LBB22_229
; %bb.224:
	s_lshl_b64 s[4:5], s[38:39], 2
	s_add_u32 s6, s18, s4
	s_addc_u32 s7, s19, s5
	s_lshl_b64 s[4:5], s[42:43], 3
	v_ashrrev_i32_e32 v8, 31, v7
	v_lshlrev_b64 v[1:2], 3, v[7:8]
	s_add_u32 s4, s24, s4
	s_addc_u32 s5, s25, s5
	s_ashr_i32 s37, s36, 31
	v_mov_b32_e32 v0, s5
	v_add_co_u32_e32 v3, vcc, s4, v1
	s_lshl_b64 s[8:9], s[36:37], 3
	v_addc_co_u32_e32 v4, vcc, v0, v2, vcc
	s_mov_b64 s[18:19], 0
	v_mov_b32_e32 v1, 0
	v_mov_b32_e32 v2, s9
	s_branch .LBB22_226
.LBB22_225:                             ;   in Loop: Header=BB22_226 Depth=1
	s_or_b64 exec, exec, s[24:25]
	v_add_u32_e32 v7, s36, v7
	v_cmp_le_i32_e32 vcc, s40, v7
	s_or_b64 s[18:19], vcc, s[18:19]
	v_add_co_u32_e32 v3, vcc, s8, v3
	v_addc_co_u32_e32 v4, vcc, v4, v2, vcc
	s_andn2_b64 exec, exec, s[18:19]
	s_cbranch_execz .LBB22_229
.LBB22_226:                             ; =>This Inner Loop Header: Depth=1
	global_load_dwordx2 v[5:6], v[3:4], off
	s_waitcnt vmcnt(0)
	v_cmp_neq_f64_e32 vcc, 0, v[5:6]
	s_and_saveexec_b64 s[24:25], vcc
	s_cbranch_execz .LBB22_225
; %bb.227:                              ;   in Loop: Header=BB22_226 Depth=1
	s_mov_b64 s[28:29], exec
	v_mbcnt_lo_u32_b32 v0, s28, 0
	v_mbcnt_hi_u32_b32 v0, s29, v0
	v_cmp_eq_u32_e32 vcc, 0, v0
	s_and_b64 s[4:5], exec, vcc
	s_mov_b64 exec, s[4:5]
	s_cbranch_execz .LBB22_225
; %bb.228:                              ;   in Loop: Header=BB22_226 Depth=1
	s_bcnt1_i32_b64 s4, s[28:29]
	v_mov_b32_e32 v0, s4
	global_atomic_add v1, v0, s[6:7]
	s_branch .LBB22_225
.LBB22_229:
	s_or_b64 exec, exec, s[2:3]
	s_cmp_lt_i32 s10, 2
	s_cbranch_scc1 .LBB22_242
; %bb.230:
	buffer_load_dword v0, off, s[96:99], 0 offset:28 ; 4-byte Folded Reload
	buffer_load_dword v1, off, s[96:99], 0 offset:24 ; 4-byte Folded Reload
	;; [unrolled: 1-line block ×3, first 2 shown]
	v_readlane_b32 s4, v63, 0
	v_readlane_b32 s5, v63, 1
	s_load_dwordx2 s[2:3], s[4:5], 0x4
	v_readlane_b32 s6, v63, 2
	v_readlane_b32 s7, v63, 3
	v_mov_b32_e32 v7, 0
	s_waitcnt lgkmcnt(0)
	s_lshr_b32 s2, s2, 16
	s_mul_i32 s2, s2, s3
	s_waitcnt vmcnt(2)
	v_mul_u32_u24_e32 v0, s3, v0
	s_add_u32 s3, s20, s34
	s_addc_u32 s4, s21, s35
	s_waitcnt vmcnt(1)
	v_mul_lo_u32 v1, s2, v1
	s_add_u32 s2, s3, 8
	s_addc_u32 s3, s4, 0
	v_readlane_b32 s4, v63, 4
	v_readlane_b32 s5, v63, 5
	s_lshl_b64 s[4:5], s[4:5], 4
	s_lshl_b64 s[6:7], s[6:7], 4
	s_add_u32 s4, s4, s6
	s_addc_u32 s5, s5, s7
	s_waitcnt vmcnt(0)
	v_add3_u32 v0, v1, v0, v2
	s_add_u32 s11, s12, s4
	v_lshl_add_u32 v6, v0, 4, 48
	s_addc_u32 s14, s13, s5
	s_mov_b32 s4, 1
	s_branch .LBB22_232
.LBB22_231:                             ;   in Loop: Header=BB22_232 Depth=1
	s_add_i32 s4, s4, 1
	s_add_u32 s2, s2, 8
	s_addc_u32 s3, s3, 0
	s_cmp_lg_u32 s4, s10
	s_waitcnt vmcnt(0) lgkmcnt(0)
	s_barrier
	s_cbranch_scc0 .LBB22_242
.LBB22_232:                             ; =>This Loop Header: Depth=1
                                        ;     Child Loop BB22_235 Depth 2
                                        ;     Child Loop BB22_241 Depth 2
	s_and_saveexec_b64 s[6:7], s[0:1]
	s_cbranch_execz .LBB22_239
; %bb.233:                              ;   in Loop: Header=BB22_232 Depth=1
	s_ashr_i32 s5, s4, 31
	s_add_i32 s17, s4, -1
	s_lshl_b64 s[8:9], s[4:5], 3
	s_add_u32 s8, s22, s8
	s_addc_u32 s9, s23, s9
	global_load_dwordx2 v[0:1], v7, s[8:9] offset:-8
	v_mov_b32_e32 v2, s17
	v_mov_b32_e32 v3, s17
	s_mov_b64 s[12:13], s[2:3]
	s_mov_b32 s5, s4
	s_mov_b32 s16, s17
	s_waitcnt vmcnt(0)
	ds_write2_b64 v7, v[0:1], v[2:3] offset1:2
	v_mov_b32_e32 v3, v1
	v_mov_b32_e32 v2, v0
	s_branch .LBB22_235
.LBB22_234:                             ;   in Loop: Header=BB22_235 Depth=2
	s_add_i32 s5, s5, 1
	s_add_u32 s12, s12, 8
	s_addc_u32 s13, s13, 0
	s_cmp_eq_u32 s10, s5
	s_cbranch_scc1 .LBB22_237
.LBB22_235:                             ;   Parent Loop BB22_232 Depth=1
                                        ; =>  This Inner Loop Header: Depth=2
	global_load_dwordx2 v[4:5], v7, s[12:13]
	s_waitcnt vmcnt(0)
	v_cmp_nlt_f64_e32 vcc, v[4:5], v[2:3]
	s_cbranch_vccnz .LBB22_234
; %bb.236:                              ;   in Loop: Header=BB22_235 Depth=2
	v_mov_b32_e32 v2, s5
	ds_write_b32 v7, v2 offset:20
	ds_write_b64 v7, v[4:5]
	v_mov_b32_e32 v2, v4
	s_mov_b32 s16, s5
	v_mov_b32_e32 v3, v5
	s_branch .LBB22_234
.LBB22_237:                             ;   in Loop: Header=BB22_232 Depth=1
	s_cmp_lg_u32 s16, s17
	s_cbranch_scc0 .LBB22_239
; %bb.238:                              ;   in Loop: Header=BB22_232 Depth=1
	s_ashr_i32 s17, s16, 31
	s_lshl_b64 s[12:13], s[16:17], 3
	s_add_u32 s12, s22, s12
	s_addc_u32 s13, s23, s13
	global_store_dwordx2 v7, v[0:1], s[12:13]
	global_store_dwordx2 v7, v[2:3], s[8:9] offset:-8
.LBB22_239:                             ;   in Loop: Header=BB22_232 Depth=1
	s_or_b64 exec, exec, s[6:7]
	s_waitcnt vmcnt(0) lgkmcnt(0)
	s_barrier
	ds_read_b64 v[0:1], v7 offset:16
	s_waitcnt lgkmcnt(0)
	v_readfirstlane_b32 s5, v0
	v_readfirstlane_b32 s6, v1
	s_cmp_eq_u32 s6, s5
	s_cbranch_scc1 .LBB22_231
; %bb.240:                              ;   in Loop: Header=BB22_232 Depth=1
	s_mul_i32 s6, s6, s15
	s_ashr_i32 s7, s6, 31
	s_lshl_b64 s[6:7], s[6:7], 4
	s_mul_i32 s8, s5, s15
	s_add_u32 s6, s11, s6
	s_addc_u32 s7, s14, s7
	s_ashr_i32 s9, s8, 31
	s_lshl_b64 s[8:9], s[8:9], 4
	s_add_u32 s8, s11, s8
	s_addc_u32 s9, s14, s9
	s_mov_b32 s5, s10
.LBB22_241:                             ;   Parent Loop BB22_232 Depth=1
                                        ; =>  This Inner Loop Header: Depth=2
	global_load_dwordx4 v[0:3], v7, s[6:7]
	global_load_dwordx4 v[8:11], v7, s[8:9]
	s_add_i32 s5, s5, -1
	s_waitcnt vmcnt(1)
	global_store_dwordx4 v7, v[0:3], s[8:9]
	s_waitcnt vmcnt(1)
	global_store_dwordx4 v7, v[8:11], s[6:7]
	s_add_u32 s6, s6, 16
	s_addc_u32 s7, s7, 0
	s_add_u32 s8, s8, 16
	s_addc_u32 s9, s9, 0
	s_cmp_lg_u32 s5, 0
	ds_write2_b64 v6, v[8:9], v[10:11] offset1:1
	s_cbranch_scc1 .LBB22_241
	s_branch .LBB22_231
.LBB22_242:
	s_endpgm
	.section	.rodata,"a",@progbits
	.p2align	6, 0x0
	.amdhsa_kernel _ZN9rocsolver6v33100L12steqr_kernelI19rocblas_complex_numIdEdPS3_EEviPT0_lS6_lT1_iilPiS6_iS5_S5_S5_
		.amdhsa_group_segment_fixed_size 16432
		.amdhsa_private_segment_fixed_size 36
		.amdhsa_kernarg_size 368
		.amdhsa_user_sgpr_count 8
		.amdhsa_user_sgpr_private_segment_buffer 1
		.amdhsa_user_sgpr_dispatch_ptr 1
		.amdhsa_user_sgpr_queue_ptr 0
		.amdhsa_user_sgpr_kernarg_segment_ptr 1
		.amdhsa_user_sgpr_dispatch_id 0
		.amdhsa_user_sgpr_flat_scratch_init 0
		.amdhsa_user_sgpr_private_segment_size 0
		.amdhsa_uses_dynamic_stack 0
		.amdhsa_system_sgpr_private_segment_wavefront_offset 1
		.amdhsa_system_sgpr_workgroup_id_x 1
		.amdhsa_system_sgpr_workgroup_id_y 1
		.amdhsa_system_sgpr_workgroup_id_z 0
		.amdhsa_system_sgpr_workgroup_info 0
		.amdhsa_system_vgpr_workitem_id 2
		.amdhsa_next_free_vgpr 64
		.amdhsa_next_free_sgpr 100
		.amdhsa_reserve_vcc 1
		.amdhsa_reserve_flat_scratch 0
		.amdhsa_float_round_mode_32 0
		.amdhsa_float_round_mode_16_64 0
		.amdhsa_float_denorm_mode_32 3
		.amdhsa_float_denorm_mode_16_64 3
		.amdhsa_dx10_clamp 1
		.amdhsa_ieee_mode 1
		.amdhsa_fp16_overflow 0
		.amdhsa_exception_fp_ieee_invalid_op 0
		.amdhsa_exception_fp_denorm_src 0
		.amdhsa_exception_fp_ieee_div_zero 0
		.amdhsa_exception_fp_ieee_overflow 0
		.amdhsa_exception_fp_ieee_underflow 0
		.amdhsa_exception_fp_ieee_inexact 0
		.amdhsa_exception_int_div_zero 0
	.end_amdhsa_kernel
	.section	.text._ZN9rocsolver6v33100L12steqr_kernelI19rocblas_complex_numIdEdPS3_EEviPT0_lS6_lT1_iilPiS6_iS5_S5_S5_,"axG",@progbits,_ZN9rocsolver6v33100L12steqr_kernelI19rocblas_complex_numIdEdPS3_EEviPT0_lS6_lT1_iilPiS6_iS5_S5_S5_,comdat
.Lfunc_end22:
	.size	_ZN9rocsolver6v33100L12steqr_kernelI19rocblas_complex_numIdEdPS3_EEviPT0_lS6_lT1_iilPiS6_iS5_S5_S5_, .Lfunc_end22-_ZN9rocsolver6v33100L12steqr_kernelI19rocblas_complex_numIdEdPS3_EEviPT0_lS6_lT1_iilPiS6_iS5_S5_S5_
                                        ; -- End function
	.set _ZN9rocsolver6v33100L12steqr_kernelI19rocblas_complex_numIdEdPS3_EEviPT0_lS6_lT1_iilPiS6_iS5_S5_S5_.num_vgpr, 64
	.set _ZN9rocsolver6v33100L12steqr_kernelI19rocblas_complex_numIdEdPS3_EEviPT0_lS6_lT1_iilPiS6_iS5_S5_S5_.num_agpr, 0
	.set _ZN9rocsolver6v33100L12steqr_kernelI19rocblas_complex_numIdEdPS3_EEviPT0_lS6_lT1_iilPiS6_iS5_S5_S5_.numbered_sgpr, 100
	.set _ZN9rocsolver6v33100L12steqr_kernelI19rocblas_complex_numIdEdPS3_EEviPT0_lS6_lT1_iilPiS6_iS5_S5_S5_.num_named_barrier, 0
	.set _ZN9rocsolver6v33100L12steqr_kernelI19rocblas_complex_numIdEdPS3_EEviPT0_lS6_lT1_iilPiS6_iS5_S5_S5_.private_seg_size, 36
	.set _ZN9rocsolver6v33100L12steqr_kernelI19rocblas_complex_numIdEdPS3_EEviPT0_lS6_lT1_iilPiS6_iS5_S5_S5_.uses_vcc, 1
	.set _ZN9rocsolver6v33100L12steqr_kernelI19rocblas_complex_numIdEdPS3_EEviPT0_lS6_lT1_iilPiS6_iS5_S5_S5_.uses_flat_scratch, 0
	.set _ZN9rocsolver6v33100L12steqr_kernelI19rocblas_complex_numIdEdPS3_EEviPT0_lS6_lT1_iilPiS6_iS5_S5_S5_.has_dyn_sized_stack, 0
	.set _ZN9rocsolver6v33100L12steqr_kernelI19rocblas_complex_numIdEdPS3_EEviPT0_lS6_lT1_iilPiS6_iS5_S5_S5_.has_recursion, 0
	.set _ZN9rocsolver6v33100L12steqr_kernelI19rocblas_complex_numIdEdPS3_EEviPT0_lS6_lT1_iilPiS6_iS5_S5_S5_.has_indirect_call, 0
	.section	.AMDGPU.csdata,"",@progbits
; Kernel info:
; codeLenInByte = 14972
; TotalNumSgprs: 104
; NumVgprs: 64
; ScratchSize: 36
; MemoryBound: 0
; FloatMode: 240
; IeeeMode: 1
; LDSByteSize: 16432 bytes/workgroup (compile time only)
; SGPRBlocks: 12
; VGPRBlocks: 15
; NumSGPRsForWavesPerEU: 104
; NumVGPRsForWavesPerEU: 64
; Occupancy: 4
; WaveLimiterHint : 0
; COMPUTE_PGM_RSRC2:SCRATCH_EN: 1
; COMPUTE_PGM_RSRC2:USER_SGPR: 8
; COMPUTE_PGM_RSRC2:TRAP_HANDLER: 0
; COMPUTE_PGM_RSRC2:TGID_X_EN: 1
; COMPUTE_PGM_RSRC2:TGID_Y_EN: 1
; COMPUTE_PGM_RSRC2:TGID_Z_EN: 0
; COMPUTE_PGM_RSRC2:TIDIG_COMP_CNT: 2
	.section	.AMDGPU.gpr_maximums,"",@progbits
	.set amdgpu.max_num_vgpr, 0
	.set amdgpu.max_num_agpr, 0
	.set amdgpu.max_num_sgpr, 0
	.section	.AMDGPU.csdata,"",@progbits
	.type	__hip_cuid_582445b30483576c,@object ; @__hip_cuid_582445b30483576c
	.section	.bss,"aw",@nobits
	.globl	__hip_cuid_582445b30483576c
__hip_cuid_582445b30483576c:
	.byte	0                               ; 0x0
	.size	__hip_cuid_582445b30483576c, 1

	.ident	"AMD clang version 22.0.0git (https://github.com/RadeonOpenCompute/llvm-project roc-7.2.4 26084 f58b06dce1f9c15707c5f808fd002e18c2accf7e)"
	.section	".note.GNU-stack","",@progbits
	.addrsig
	.addrsig_sym __hip_cuid_582445b30483576c
	.amdgpu_metadata
---
amdhsa.kernels:
  - .args:
      - .address_space:  global
        .offset:         0
        .size:           8
        .value_kind:     global_buffer
      - .offset:         8
        .size:           4
        .value_kind:     by_value
      - .offset:         12
        .size:           4
        .value_kind:     by_value
      - .offset:         16
        .size:           4
        .value_kind:     by_value
      - .offset:         24
        .size:           4
        .value_kind:     hidden_block_count_x
      - .offset:         28
        .size:           4
        .value_kind:     hidden_block_count_y
      - .offset:         32
        .size:           4
        .value_kind:     hidden_block_count_z
      - .offset:         36
        .size:           2
        .value_kind:     hidden_group_size_x
      - .offset:         38
        .size:           2
        .value_kind:     hidden_group_size_y
      - .offset:         40
        .size:           2
        .value_kind:     hidden_group_size_z
      - .offset:         42
        .size:           2
        .value_kind:     hidden_remainder_x
      - .offset:         44
        .size:           2
        .value_kind:     hidden_remainder_y
      - .offset:         46
        .size:           2
        .value_kind:     hidden_remainder_z
      - .offset:         64
        .size:           8
        .value_kind:     hidden_global_offset_x
      - .offset:         72
        .size:           8
        .value_kind:     hidden_global_offset_y
      - .offset:         80
        .size:           8
        .value_kind:     hidden_global_offset_z
      - .offset:         88
        .size:           2
        .value_kind:     hidden_grid_dims
    .group_segment_fixed_size: 0
    .kernarg_segment_align: 8
    .kernarg_segment_size: 280
    .language:       OpenCL C
    .language_version:
      - 2
      - 0
    .max_flat_workgroup_size: 1024
    .name:           _ZN9rocsolver6v33100L10reset_infoIiiiEEvPT_T0_T1_S4_
    .private_segment_fixed_size: 0
    .sgpr_count:     12
    .sgpr_spill_count: 0
    .symbol:         _ZN9rocsolver6v33100L10reset_infoIiiiEEvPT_T0_T1_S4_.kd
    .uniform_work_group_size: 1
    .uses_dynamic_stack: false
    .vgpr_count:     4
    .vgpr_spill_count: 0
    .wavefront_size: 64
  - .args:
      - .address_space:  global
        .offset:         0
        .size:           8
        .value_kind:     global_buffer
      - .offset:         8
        .size:           8
        .value_kind:     by_value
      - .offset:         16
        .size:           4
        .value_kind:     by_value
      - .offset:         20
        .size:           4
        .value_kind:     by_value
      - .offset:         24
        .size:           4
        .value_kind:     hidden_block_count_x
      - .offset:         28
        .size:           4
        .value_kind:     hidden_block_count_y
      - .offset:         32
        .size:           4
        .value_kind:     hidden_block_count_z
      - .offset:         36
        .size:           2
        .value_kind:     hidden_group_size_x
      - .offset:         38
        .size:           2
        .value_kind:     hidden_group_size_y
      - .offset:         40
        .size:           2
        .value_kind:     hidden_group_size_z
      - .offset:         42
        .size:           2
        .value_kind:     hidden_remainder_x
      - .offset:         44
        .size:           2
        .value_kind:     hidden_remainder_y
      - .offset:         46
        .size:           2
        .value_kind:     hidden_remainder_z
      - .offset:         64
        .size:           8
        .value_kind:     hidden_global_offset_x
      - .offset:         72
        .size:           8
        .value_kind:     hidden_global_offset_y
      - .offset:         80
        .size:           8
        .value_kind:     hidden_global_offset_z
      - .offset:         88
        .size:           2
        .value_kind:     hidden_grid_dims
    .group_segment_fixed_size: 0
    .kernarg_segment_align: 8
    .kernarg_segment_size: 280
    .language:       OpenCL C
    .language_version:
      - 2
      - 0
    .max_flat_workgroup_size: 1024
    .name:           _ZN9rocsolver6v33100L16reset_batch_infoIfiiPfEEvT2_lT0_T1_
    .private_segment_fixed_size: 0
    .sgpr_count:     16
    .sgpr_spill_count: 0
    .symbol:         _ZN9rocsolver6v33100L16reset_batch_infoIfiiPfEEvT2_lT0_T1_.kd
    .uniform_work_group_size: 1
    .uses_dynamic_stack: false
    .vgpr_count:     4
    .vgpr_spill_count: 0
    .wavefront_size: 64
  - .args:
      - .offset:         0
        .size:           4
        .value_kind:     by_value
      - .offset:         4
        .size:           4
        .value_kind:     by_value
      - .address_space:  global
        .offset:         8
        .size:           8
        .value_kind:     global_buffer
      - .offset:         16
        .size:           4
        .value_kind:     by_value
      - .offset:         20
        .size:           4
        .value_kind:     by_value
      - .offset:         24
        .size:           8
        .value_kind:     by_value
      - .offset:         32
        .size:           4
        .value_kind:     hidden_block_count_x
      - .offset:         36
        .size:           4
        .value_kind:     hidden_block_count_y
      - .offset:         40
        .size:           4
        .value_kind:     hidden_block_count_z
      - .offset:         44
        .size:           2
        .value_kind:     hidden_group_size_x
      - .offset:         46
        .size:           2
        .value_kind:     hidden_group_size_y
      - .offset:         48
        .size:           2
        .value_kind:     hidden_group_size_z
      - .offset:         50
        .size:           2
        .value_kind:     hidden_remainder_x
      - .offset:         52
        .size:           2
        .value_kind:     hidden_remainder_y
      - .offset:         54
        .size:           2
        .value_kind:     hidden_remainder_z
      - .offset:         72
        .size:           8
        .value_kind:     hidden_global_offset_x
      - .offset:         80
        .size:           8
        .value_kind:     hidden_global_offset_y
      - .offset:         88
        .size:           8
        .value_kind:     hidden_global_offset_z
      - .offset:         96
        .size:           2
        .value_kind:     hidden_grid_dims
    .group_segment_fixed_size: 0
    .kernarg_segment_align: 8
    .kernarg_segment_size: 288
    .language:       OpenCL C
    .language_version:
      - 2
      - 0
    .max_flat_workgroup_size: 1024
    .name:           _ZN9rocsolver6v33100L10init_identIfPfEEviiT0_iil
    .private_segment_fixed_size: 0
    .sgpr_count:     13
    .sgpr_spill_count: 0
    .symbol:         _ZN9rocsolver6v33100L10init_identIfPfEEviiT0_iil.kd
    .uniform_work_group_size: 1
    .uses_dynamic_stack: false
    .vgpr_count:     4
    .vgpr_spill_count: 0
    .wavefront_size: 64
  - .args:
      - .offset:         0
        .size:           4
        .value_kind:     by_value
      - .address_space:  global
        .offset:         8
        .size:           8
        .value_kind:     global_buffer
      - .offset:         16
        .size:           8
        .value_kind:     by_value
      - .address_space:  global
        .offset:         24
        .size:           8
        .value_kind:     global_buffer
      - .offset:         32
        .size:           8
        .value_kind:     by_value
      - .address_space:  global
        .offset:         40
        .size:           8
        .value_kind:     global_buffer
      - .address_space:  global
        .offset:         48
        .size:           8
        .value_kind:     global_buffer
      - .offset:         56
        .size:           4
        .value_kind:     by_value
      - .offset:         60
        .size:           4
        .value_kind:     by_value
      - .offset:         64
        .size:           4
        .value_kind:     by_value
      - .offset:         68
        .size:           4
        .value_kind:     by_value
    .group_segment_fixed_size: 0
    .kernarg_segment_align: 8
    .kernarg_segment_size: 72
    .language:       OpenCL C
    .language_version:
      - 2
      - 0
    .max_flat_workgroup_size: 1024
    .name:           _ZN9rocsolver6v33100L12sterf_kernelIfEEviPT_lS3_lPiS4_iS2_S2_S2_
    .private_segment_fixed_size: 0
    .sgpr_count:     75
    .sgpr_spill_count: 0
    .symbol:         _ZN9rocsolver6v33100L12sterf_kernelIfEEviPT_lS3_lPiS4_iS2_S2_S2_.kd
    .uniform_work_group_size: 1
    .uses_dynamic_stack: false
    .vgpr_count:     26
    .vgpr_spill_count: 0
    .wavefront_size: 64
  - .args:
      - .offset:         0
        .size:           4
        .value_kind:     by_value
      - .offset:         4
        .size:           4
        .value_kind:     by_value
      - .offset:         8
        .size:           4
        .value_kind:     by_value
      - .offset:         12
        .size:           4
        .value_kind:     by_value
      - .offset:         16
        .size:           4
        .value_kind:     by_value
      - .address_space:  global
        .offset:         24
        .size:           8
        .value_kind:     global_buffer
      - .offset:         32
        .size:           8
        .value_kind:     by_value
      - .address_space:  global
        .offset:         40
        .size:           8
        .value_kind:     global_buffer
      - .offset:         48
        .size:           8
        .value_kind:     by_value
      - .address_space:  global
        .offset:         56
        .size:           8
        .value_kind:     global_buffer
      - .offset:         64
        .size:           8
        .value_kind:     by_value
      - .offset:         72
        .size:           4
        .value_kind:     by_value
      - .offset:         80
        .size:           8
        .value_kind:     by_value
      - .offset:         88
        .size:           4
        .value_kind:     by_value
      - .offset:         96
        .size:           4
        .value_kind:     hidden_block_count_x
      - .offset:         100
        .size:           4
        .value_kind:     hidden_block_count_y
      - .offset:         104
        .size:           4
        .value_kind:     hidden_block_count_z
      - .offset:         108
        .size:           2
        .value_kind:     hidden_group_size_x
      - .offset:         110
        .size:           2
        .value_kind:     hidden_group_size_y
      - .offset:         112
        .size:           2
        .value_kind:     hidden_group_size_z
      - .offset:         114
        .size:           2
        .value_kind:     hidden_remainder_x
      - .offset:         116
        .size:           2
        .value_kind:     hidden_remainder_y
      - .offset:         118
        .size:           2
        .value_kind:     hidden_remainder_z
      - .offset:         136
        .size:           8
        .value_kind:     hidden_global_offset_x
      - .offset:         144
        .size:           8
        .value_kind:     hidden_global_offset_y
      - .offset:         152
        .size:           8
        .value_kind:     hidden_global_offset_z
      - .offset:         160
        .size:           2
        .value_kind:     hidden_grid_dims
    .group_segment_fixed_size: 0
    .kernarg_segment_align: 8
    .kernarg_segment_size: 352
    .language:       OpenCL C
    .language_version:
      - 2
      - 0
    .max_flat_workgroup_size: 64
    .name:           _ZN9rocsolver6v33100L11lasr_kernelIffPfiEEv13rocblas_side_14rocblas_pivot_15rocblas_direct_T2_S6_PT0_lS8_lT1_lS6_lS6_
    .private_segment_fixed_size: 0
    .sgpr_count:     100
    .sgpr_spill_count: 11
    .symbol:         _ZN9rocsolver6v33100L11lasr_kernelIffPfiEEv13rocblas_side_14rocblas_pivot_15rocblas_direct_T2_S6_PT0_lS8_lT1_lS6_lS6_.kd
    .uniform_work_group_size: 1
    .uses_dynamic_stack: false
    .vgpr_count:     43
    .vgpr_spill_count: 0
    .wavefront_size: 64
  - .args:
      - .offset:         0
        .size:           4
        .value_kind:     by_value
      - .address_space:  global
        .offset:         8
        .size:           8
        .value_kind:     global_buffer
      - .offset:         16
        .size:           4
        .value_kind:     by_value
      - .address_space:  global
        .offset:         24
        .size:           8
        .value_kind:     global_buffer
      - .offset:         32
        .size:           4
        .value_kind:     by_value
      - .offset:         40
        .size:           4
        .value_kind:     hidden_block_count_x
      - .offset:         44
        .size:           4
        .value_kind:     hidden_block_count_y
      - .offset:         48
        .size:           4
        .value_kind:     hidden_block_count_z
      - .offset:         52
        .size:           2
        .value_kind:     hidden_group_size_x
      - .offset:         54
        .size:           2
        .value_kind:     hidden_group_size_y
      - .offset:         56
        .size:           2
        .value_kind:     hidden_group_size_z
      - .offset:         58
        .size:           2
        .value_kind:     hidden_remainder_x
      - .offset:         60
        .size:           2
        .value_kind:     hidden_remainder_y
      - .offset:         62
        .size:           2
        .value_kind:     hidden_remainder_z
      - .offset:         80
        .size:           8
        .value_kind:     hidden_global_offset_x
      - .offset:         88
        .size:           8
        .value_kind:     hidden_global_offset_y
      - .offset:         96
        .size:           8
        .value_kind:     hidden_global_offset_z
      - .offset:         104
        .size:           2
        .value_kind:     hidden_grid_dims
    .group_segment_fixed_size: 0
    .kernarg_segment_align: 8
    .kernarg_segment_size: 296
    .language:       OpenCL C
    .language_version:
      - 2
      - 0
    .max_flat_workgroup_size: 1024
    .name:           _ZN9rocsolver6v33100L11swap_kernelIfiEEvT0_PT_S2_S4_S2_
    .private_segment_fixed_size: 0
    .sgpr_count:     21
    .sgpr_spill_count: 0
    .symbol:         _ZN9rocsolver6v33100L11swap_kernelIfiEEvT0_PT_S2_S4_S2_.kd
    .uniform_work_group_size: 1
    .uses_dynamic_stack: false
    .vgpr_count:     12
    .vgpr_spill_count: 0
    .wavefront_size: 64
  - .args:
      - .offset:         0
        .size:           4
        .value_kind:     by_value
      - .address_space:  global
        .offset:         8
        .size:           8
        .value_kind:     global_buffer
      - .offset:         16
        .size:           8
        .value_kind:     by_value
      - .address_space:  global
        .offset:         24
        .size:           8
        .value_kind:     global_buffer
      - .offset:         32
        .size:           8
        .value_kind:     by_value
      - .address_space:  global
        .offset:         40
        .size:           8
        .value_kind:     global_buffer
      - .offset:         48
        .size:           4
        .value_kind:     by_value
      - .offset:         52
        .size:           4
        .value_kind:     by_value
      - .offset:         56
        .size:           8
        .value_kind:     by_value
      - .address_space:  global
        .offset:         64
        .size:           8
        .value_kind:     global_buffer
      - .address_space:  global
        .offset:         72
        .size:           8
        .value_kind:     global_buffer
      - .offset:         80
        .size:           4
        .value_kind:     by_value
      - .offset:         84
        .size:           4
        .value_kind:     by_value
      - .offset:         88
        .size:           4
        .value_kind:     by_value
      - .offset:         92
        .size:           4
        .value_kind:     by_value
      - .offset:         96
        .size:           4
        .value_kind:     hidden_block_count_x
      - .offset:         100
        .size:           4
        .value_kind:     hidden_block_count_y
      - .offset:         104
        .size:           4
        .value_kind:     hidden_block_count_z
      - .offset:         108
        .size:           2
        .value_kind:     hidden_group_size_x
      - .offset:         110
        .size:           2
        .value_kind:     hidden_group_size_y
      - .offset:         112
        .size:           2
        .value_kind:     hidden_group_size_z
      - .offset:         114
        .size:           2
        .value_kind:     hidden_remainder_x
      - .offset:         116
        .size:           2
        .value_kind:     hidden_remainder_y
      - .offset:         118
        .size:           2
        .value_kind:     hidden_remainder_z
      - .offset:         136
        .size:           8
        .value_kind:     hidden_global_offset_x
      - .offset:         144
        .size:           8
        .value_kind:     hidden_global_offset_y
      - .offset:         152
        .size:           8
        .value_kind:     hidden_global_offset_z
      - .offset:         160
        .size:           2
        .value_kind:     hidden_grid_dims
    .group_segment_fixed_size: 36
    .kernarg_segment_align: 8
    .kernarg_segment_size: 352
    .language:       OpenCL C
    .language_version:
      - 2
      - 0
    .max_flat_workgroup_size: 1024
    .name:           _ZN9rocsolver6v33100L12steqr_kernelIffPfEEviPT0_lS4_lT1_iilPiS4_iS3_S3_S3_
    .private_segment_fixed_size: 0
    .sgpr_count:     100
    .sgpr_spill_count: 2
    .symbol:         _ZN9rocsolver6v33100L12steqr_kernelIffPfEEviPT0_lS4_lT1_iilPiS4_iS3_S3_S3_.kd
    .uniform_work_group_size: 1
    .uses_dynamic_stack: false
    .vgpr_count:     61
    .vgpr_spill_count: 0
    .wavefront_size: 64
  - .args:
      - .address_space:  global
        .offset:         0
        .size:           8
        .value_kind:     global_buffer
      - .offset:         8
        .size:           8
        .value_kind:     by_value
      - .offset:         16
        .size:           4
        .value_kind:     by_value
      - .offset:         20
        .size:           4
        .value_kind:     by_value
      - .offset:         24
        .size:           4
        .value_kind:     hidden_block_count_x
      - .offset:         28
        .size:           4
        .value_kind:     hidden_block_count_y
      - .offset:         32
        .size:           4
        .value_kind:     hidden_block_count_z
      - .offset:         36
        .size:           2
        .value_kind:     hidden_group_size_x
      - .offset:         38
        .size:           2
        .value_kind:     hidden_group_size_y
      - .offset:         40
        .size:           2
        .value_kind:     hidden_group_size_z
      - .offset:         42
        .size:           2
        .value_kind:     hidden_remainder_x
      - .offset:         44
        .size:           2
        .value_kind:     hidden_remainder_y
      - .offset:         46
        .size:           2
        .value_kind:     hidden_remainder_z
      - .offset:         64
        .size:           8
        .value_kind:     hidden_global_offset_x
      - .offset:         72
        .size:           8
        .value_kind:     hidden_global_offset_y
      - .offset:         80
        .size:           8
        .value_kind:     hidden_global_offset_z
      - .offset:         88
        .size:           2
        .value_kind:     hidden_grid_dims
    .group_segment_fixed_size: 0
    .kernarg_segment_align: 8
    .kernarg_segment_size: 280
    .language:       OpenCL C
    .language_version:
      - 2
      - 0
    .max_flat_workgroup_size: 1024
    .name:           _ZN9rocsolver6v33100L16reset_batch_infoIdiiPdEEvT2_lT0_T1_
    .private_segment_fixed_size: 0
    .sgpr_count:     16
    .sgpr_spill_count: 0
    .symbol:         _ZN9rocsolver6v33100L16reset_batch_infoIdiiPdEEvT2_lT0_T1_.kd
    .uniform_work_group_size: 1
    .uses_dynamic_stack: false
    .vgpr_count:     5
    .vgpr_spill_count: 0
    .wavefront_size: 64
  - .args:
      - .offset:         0
        .size:           4
        .value_kind:     by_value
      - .offset:         4
        .size:           4
        .value_kind:     by_value
      - .address_space:  global
        .offset:         8
        .size:           8
        .value_kind:     global_buffer
      - .offset:         16
        .size:           4
        .value_kind:     by_value
      - .offset:         20
        .size:           4
        .value_kind:     by_value
      - .offset:         24
        .size:           8
        .value_kind:     by_value
      - .offset:         32
        .size:           4
        .value_kind:     hidden_block_count_x
      - .offset:         36
        .size:           4
        .value_kind:     hidden_block_count_y
      - .offset:         40
        .size:           4
        .value_kind:     hidden_block_count_z
      - .offset:         44
        .size:           2
        .value_kind:     hidden_group_size_x
      - .offset:         46
        .size:           2
        .value_kind:     hidden_group_size_y
      - .offset:         48
        .size:           2
        .value_kind:     hidden_group_size_z
      - .offset:         50
        .size:           2
        .value_kind:     hidden_remainder_x
      - .offset:         52
        .size:           2
        .value_kind:     hidden_remainder_y
      - .offset:         54
        .size:           2
        .value_kind:     hidden_remainder_z
      - .offset:         72
        .size:           8
        .value_kind:     hidden_global_offset_x
      - .offset:         80
        .size:           8
        .value_kind:     hidden_global_offset_y
      - .offset:         88
        .size:           8
        .value_kind:     hidden_global_offset_z
      - .offset:         96
        .size:           2
        .value_kind:     hidden_grid_dims
    .group_segment_fixed_size: 0
    .kernarg_segment_align: 8
    .kernarg_segment_size: 288
    .language:       OpenCL C
    .language_version:
      - 2
      - 0
    .max_flat_workgroup_size: 1024
    .name:           _ZN9rocsolver6v33100L10init_identIdPdEEviiT0_iil
    .private_segment_fixed_size: 0
    .sgpr_count:     13
    .sgpr_spill_count: 0
    .symbol:         _ZN9rocsolver6v33100L10init_identIdPdEEviiT0_iil.kd
    .uniform_work_group_size: 1
    .uses_dynamic_stack: false
    .vgpr_count:     6
    .vgpr_spill_count: 0
    .wavefront_size: 64
  - .args:
      - .offset:         0
        .size:           4
        .value_kind:     by_value
      - .address_space:  global
        .offset:         8
        .size:           8
        .value_kind:     global_buffer
      - .offset:         16
        .size:           8
        .value_kind:     by_value
      - .address_space:  global
        .offset:         24
        .size:           8
        .value_kind:     global_buffer
      - .offset:         32
        .size:           8
        .value_kind:     by_value
      - .address_space:  global
        .offset:         40
        .size:           8
        .value_kind:     global_buffer
      - .address_space:  global
        .offset:         48
        .size:           8
        .value_kind:     global_buffer
      - .offset:         56
        .size:           4
        .value_kind:     by_value
      - .offset:         64
        .size:           8
        .value_kind:     by_value
      - .offset:         72
        .size:           8
        .value_kind:     by_value
      - .offset:         80
        .size:           8
        .value_kind:     by_value
    .group_segment_fixed_size: 0
    .kernarg_segment_align: 8
    .kernarg_segment_size: 88
    .language:       OpenCL C
    .language_version:
      - 2
      - 0
    .max_flat_workgroup_size: 1024
    .name:           _ZN9rocsolver6v33100L12sterf_kernelIdEEviPT_lS3_lPiS4_iS2_S2_S2_
    .private_segment_fixed_size: 0
    .sgpr_count:     78
    .sgpr_spill_count: 0
    .symbol:         _ZN9rocsolver6v33100L12sterf_kernelIdEEviPT_lS3_lPiS4_iS2_S2_S2_.kd
    .uniform_work_group_size: 1
    .uses_dynamic_stack: false
    .vgpr_count:     31
    .vgpr_spill_count: 0
    .wavefront_size: 64
  - .args:
      - .offset:         0
        .size:           4
        .value_kind:     by_value
      - .offset:         4
        .size:           4
        .value_kind:     by_value
      - .offset:         8
        .size:           4
        .value_kind:     by_value
      - .offset:         12
        .size:           4
        .value_kind:     by_value
      - .offset:         16
        .size:           4
        .value_kind:     by_value
      - .address_space:  global
        .offset:         24
        .size:           8
        .value_kind:     global_buffer
      - .offset:         32
        .size:           8
        .value_kind:     by_value
      - .address_space:  global
        .offset:         40
        .size:           8
        .value_kind:     global_buffer
      - .offset:         48
        .size:           8
        .value_kind:     by_value
      - .address_space:  global
        .offset:         56
        .size:           8
        .value_kind:     global_buffer
      - .offset:         64
        .size:           8
        .value_kind:     by_value
      - .offset:         72
        .size:           4
        .value_kind:     by_value
      - .offset:         80
        .size:           8
        .value_kind:     by_value
      - .offset:         88
        .size:           4
        .value_kind:     by_value
      - .offset:         96
        .size:           4
        .value_kind:     hidden_block_count_x
      - .offset:         100
        .size:           4
        .value_kind:     hidden_block_count_y
      - .offset:         104
        .size:           4
        .value_kind:     hidden_block_count_z
      - .offset:         108
        .size:           2
        .value_kind:     hidden_group_size_x
      - .offset:         110
        .size:           2
        .value_kind:     hidden_group_size_y
      - .offset:         112
        .size:           2
        .value_kind:     hidden_group_size_z
      - .offset:         114
        .size:           2
        .value_kind:     hidden_remainder_x
      - .offset:         116
        .size:           2
        .value_kind:     hidden_remainder_y
      - .offset:         118
        .size:           2
        .value_kind:     hidden_remainder_z
      - .offset:         136
        .size:           8
        .value_kind:     hidden_global_offset_x
      - .offset:         144
        .size:           8
        .value_kind:     hidden_global_offset_y
      - .offset:         152
        .size:           8
        .value_kind:     hidden_global_offset_z
      - .offset:         160
        .size:           2
        .value_kind:     hidden_grid_dims
    .group_segment_fixed_size: 0
    .kernarg_segment_align: 8
    .kernarg_segment_size: 352
    .language:       OpenCL C
    .language_version:
      - 2
      - 0
    .max_flat_workgroup_size: 64
    .name:           _ZN9rocsolver6v33100L11lasr_kernelIddPdiEEv13rocblas_side_14rocblas_pivot_15rocblas_direct_T2_S6_PT0_lS8_lT1_lS6_lS6_
    .private_segment_fixed_size: 0
    .sgpr_count:     100
    .sgpr_spill_count: 11
    .symbol:         _ZN9rocsolver6v33100L11lasr_kernelIddPdiEEv13rocblas_side_14rocblas_pivot_15rocblas_direct_T2_S6_PT0_lS8_lT1_lS6_lS6_.kd
    .uniform_work_group_size: 1
    .uses_dynamic_stack: false
    .vgpr_count:     46
    .vgpr_spill_count: 0
    .wavefront_size: 64
  - .args:
      - .offset:         0
        .size:           4
        .value_kind:     by_value
      - .address_space:  global
        .offset:         8
        .size:           8
        .value_kind:     global_buffer
      - .offset:         16
        .size:           4
        .value_kind:     by_value
      - .address_space:  global
        .offset:         24
        .size:           8
        .value_kind:     global_buffer
      - .offset:         32
        .size:           4
        .value_kind:     by_value
      - .offset:         40
        .size:           4
        .value_kind:     hidden_block_count_x
      - .offset:         44
        .size:           4
        .value_kind:     hidden_block_count_y
      - .offset:         48
        .size:           4
        .value_kind:     hidden_block_count_z
      - .offset:         52
        .size:           2
        .value_kind:     hidden_group_size_x
      - .offset:         54
        .size:           2
        .value_kind:     hidden_group_size_y
      - .offset:         56
        .size:           2
        .value_kind:     hidden_group_size_z
      - .offset:         58
        .size:           2
        .value_kind:     hidden_remainder_x
      - .offset:         60
        .size:           2
        .value_kind:     hidden_remainder_y
      - .offset:         62
        .size:           2
        .value_kind:     hidden_remainder_z
      - .offset:         80
        .size:           8
        .value_kind:     hidden_global_offset_x
      - .offset:         88
        .size:           8
        .value_kind:     hidden_global_offset_y
      - .offset:         96
        .size:           8
        .value_kind:     hidden_global_offset_z
      - .offset:         104
        .size:           2
        .value_kind:     hidden_grid_dims
    .group_segment_fixed_size: 0
    .kernarg_segment_align: 8
    .kernarg_segment_size: 296
    .language:       OpenCL C
    .language_version:
      - 2
      - 0
    .max_flat_workgroup_size: 1024
    .name:           _ZN9rocsolver6v33100L11swap_kernelIdiEEvT0_PT_S2_S4_S2_
    .private_segment_fixed_size: 0
    .sgpr_count:     21
    .sgpr_spill_count: 0
    .symbol:         _ZN9rocsolver6v33100L11swap_kernelIdiEEvT0_PT_S2_S4_S2_.kd
    .uniform_work_group_size: 1
    .uses_dynamic_stack: false
    .vgpr_count:     14
    .vgpr_spill_count: 0
    .wavefront_size: 64
  - .args:
      - .offset:         0
        .size:           4
        .value_kind:     by_value
      - .address_space:  global
        .offset:         8
        .size:           8
        .value_kind:     global_buffer
      - .offset:         16
        .size:           8
        .value_kind:     by_value
      - .address_space:  global
        .offset:         24
        .size:           8
        .value_kind:     global_buffer
      - .offset:         32
        .size:           8
        .value_kind:     by_value
      - .address_space:  global
        .offset:         40
        .size:           8
        .value_kind:     global_buffer
      - .offset:         48
        .size:           4
        .value_kind:     by_value
      - .offset:         52
        .size:           4
        .value_kind:     by_value
      - .offset:         56
        .size:           8
        .value_kind:     by_value
      - .address_space:  global
        .offset:         64
        .size:           8
        .value_kind:     global_buffer
      - .address_space:  global
        .offset:         72
        .size:           8
        .value_kind:     global_buffer
      - .offset:         80
        .size:           4
        .value_kind:     by_value
      - .offset:         88
        .size:           8
        .value_kind:     by_value
      - .offset:         96
        .size:           8
        .value_kind:     by_value
      - .offset:         104
        .size:           8
        .value_kind:     by_value
      - .offset:         112
        .size:           4
        .value_kind:     hidden_block_count_x
      - .offset:         116
        .size:           4
        .value_kind:     hidden_block_count_y
      - .offset:         120
        .size:           4
        .value_kind:     hidden_block_count_z
      - .offset:         124
        .size:           2
        .value_kind:     hidden_group_size_x
      - .offset:         126
        .size:           2
        .value_kind:     hidden_group_size_y
      - .offset:         128
        .size:           2
        .value_kind:     hidden_group_size_z
      - .offset:         130
        .size:           2
        .value_kind:     hidden_remainder_x
      - .offset:         132
        .size:           2
        .value_kind:     hidden_remainder_y
      - .offset:         134
        .size:           2
        .value_kind:     hidden_remainder_z
      - .offset:         152
        .size:           8
        .value_kind:     hidden_global_offset_x
      - .offset:         160
        .size:           8
        .value_kind:     hidden_global_offset_y
      - .offset:         168
        .size:           8
        .value_kind:     hidden_global_offset_z
      - .offset:         176
        .size:           2
        .value_kind:     hidden_grid_dims
    .group_segment_fixed_size: 48
    .kernarg_segment_align: 8
    .kernarg_segment_size: 368
    .language:       OpenCL C
    .language_version:
      - 2
      - 0
    .max_flat_workgroup_size: 1024
    .name:           _ZN9rocsolver6v33100L12steqr_kernelIddPdEEviPT0_lS4_lT1_iilPiS4_iS3_S3_S3_
    .private_segment_fixed_size: 28
    .sgpr_count:     104
    .sgpr_spill_count: 6
    .symbol:         _ZN9rocsolver6v33100L12steqr_kernelIddPdEEviPT0_lS4_lT1_iilPiS4_iS3_S3_S3_.kd
    .uniform_work_group_size: 1
    .uses_dynamic_stack: false
    .vgpr_count:     63
    .vgpr_spill_count: 6
    .wavefront_size: 64
  - .args:
      - .address_space:  global
        .offset:         0
        .size:           8
        .value_kind:     global_buffer
      - .offset:         8
        .size:           8
        .value_kind:     by_value
      - .offset:         16
        .size:           4
        .value_kind:     by_value
      - .offset:         20
        .size:           4
        .value_kind:     by_value
      - .offset:         24
        .size:           4
        .value_kind:     hidden_block_count_x
      - .offset:         28
        .size:           4
        .value_kind:     hidden_block_count_y
      - .offset:         32
        .size:           4
        .value_kind:     hidden_block_count_z
      - .offset:         36
        .size:           2
        .value_kind:     hidden_group_size_x
      - .offset:         38
        .size:           2
        .value_kind:     hidden_group_size_y
      - .offset:         40
        .size:           2
        .value_kind:     hidden_group_size_z
      - .offset:         42
        .size:           2
        .value_kind:     hidden_remainder_x
      - .offset:         44
        .size:           2
        .value_kind:     hidden_remainder_y
      - .offset:         46
        .size:           2
        .value_kind:     hidden_remainder_z
      - .offset:         64
        .size:           8
        .value_kind:     hidden_global_offset_x
      - .offset:         72
        .size:           8
        .value_kind:     hidden_global_offset_y
      - .offset:         80
        .size:           8
        .value_kind:     hidden_global_offset_z
      - .offset:         88
        .size:           2
        .value_kind:     hidden_grid_dims
    .group_segment_fixed_size: 0
    .kernarg_segment_align: 8
    .kernarg_segment_size: 280
    .language:       OpenCL C
    .language_version:
      - 2
      - 0
    .max_flat_workgroup_size: 1024
    .name:           _ZN9rocsolver6v33100L16reset_batch_infoI19rocblas_complex_numIfEiiPS3_EEvT2_lT0_T1_
    .private_segment_fixed_size: 0
    .sgpr_count:     16
    .sgpr_spill_count: 0
    .symbol:         _ZN9rocsolver6v33100L16reset_batch_infoI19rocblas_complex_numIfEiiPS3_EEvT2_lT0_T1_.kd
    .uniform_work_group_size: 1
    .uses_dynamic_stack: false
    .vgpr_count:     4
    .vgpr_spill_count: 0
    .wavefront_size: 64
  - .args:
      - .offset:         0
        .size:           4
        .value_kind:     by_value
      - .offset:         4
        .size:           4
        .value_kind:     by_value
      - .address_space:  global
        .offset:         8
        .size:           8
        .value_kind:     global_buffer
      - .offset:         16
        .size:           4
        .value_kind:     by_value
      - .offset:         20
        .size:           4
        .value_kind:     by_value
      - .offset:         24
        .size:           8
        .value_kind:     by_value
      - .offset:         32
        .size:           4
        .value_kind:     hidden_block_count_x
      - .offset:         36
        .size:           4
        .value_kind:     hidden_block_count_y
      - .offset:         40
        .size:           4
        .value_kind:     hidden_block_count_z
      - .offset:         44
        .size:           2
        .value_kind:     hidden_group_size_x
      - .offset:         46
        .size:           2
        .value_kind:     hidden_group_size_y
      - .offset:         48
        .size:           2
        .value_kind:     hidden_group_size_z
      - .offset:         50
        .size:           2
        .value_kind:     hidden_remainder_x
      - .offset:         52
        .size:           2
        .value_kind:     hidden_remainder_y
      - .offset:         54
        .size:           2
        .value_kind:     hidden_remainder_z
      - .offset:         72
        .size:           8
        .value_kind:     hidden_global_offset_x
      - .offset:         80
        .size:           8
        .value_kind:     hidden_global_offset_y
      - .offset:         88
        .size:           8
        .value_kind:     hidden_global_offset_z
      - .offset:         96
        .size:           2
        .value_kind:     hidden_grid_dims
    .group_segment_fixed_size: 0
    .kernarg_segment_align: 8
    .kernarg_segment_size: 288
    .language:       OpenCL C
    .language_version:
      - 2
      - 0
    .max_flat_workgroup_size: 1024
    .name:           _ZN9rocsolver6v33100L10init_identI19rocblas_complex_numIfEPS3_EEviiT0_iil
    .private_segment_fixed_size: 0
    .sgpr_count:     13
    .sgpr_spill_count: 0
    .symbol:         _ZN9rocsolver6v33100L10init_identI19rocblas_complex_numIfEPS3_EEviiT0_iil.kd
    .uniform_work_group_size: 1
    .uses_dynamic_stack: false
    .vgpr_count:     7
    .vgpr_spill_count: 0
    .wavefront_size: 64
  - .args:
      - .offset:         0
        .size:           4
        .value_kind:     by_value
      - .offset:         4
        .size:           4
        .value_kind:     by_value
      - .offset:         8
        .size:           4
        .value_kind:     by_value
      - .offset:         12
        .size:           4
        .value_kind:     by_value
      - .offset:         16
        .size:           4
        .value_kind:     by_value
      - .address_space:  global
        .offset:         24
        .size:           8
        .value_kind:     global_buffer
      - .offset:         32
        .size:           8
        .value_kind:     by_value
      - .address_space:  global
        .offset:         40
        .size:           8
        .value_kind:     global_buffer
      - .offset:         48
        .size:           8
        .value_kind:     by_value
      - .address_space:  global
        .offset:         56
        .size:           8
        .value_kind:     global_buffer
      - .offset:         64
        .size:           8
        .value_kind:     by_value
      - .offset:         72
        .size:           4
        .value_kind:     by_value
      - .offset:         80
        .size:           8
        .value_kind:     by_value
      - .offset:         88
        .size:           4
        .value_kind:     by_value
      - .offset:         96
        .size:           4
        .value_kind:     hidden_block_count_x
      - .offset:         100
        .size:           4
        .value_kind:     hidden_block_count_y
      - .offset:         104
        .size:           4
        .value_kind:     hidden_block_count_z
      - .offset:         108
        .size:           2
        .value_kind:     hidden_group_size_x
      - .offset:         110
        .size:           2
        .value_kind:     hidden_group_size_y
      - .offset:         112
        .size:           2
        .value_kind:     hidden_group_size_z
      - .offset:         114
        .size:           2
        .value_kind:     hidden_remainder_x
      - .offset:         116
        .size:           2
        .value_kind:     hidden_remainder_y
      - .offset:         118
        .size:           2
        .value_kind:     hidden_remainder_z
      - .offset:         136
        .size:           8
        .value_kind:     hidden_global_offset_x
      - .offset:         144
        .size:           8
        .value_kind:     hidden_global_offset_y
      - .offset:         152
        .size:           8
        .value_kind:     hidden_global_offset_z
      - .offset:         160
        .size:           2
        .value_kind:     hidden_grid_dims
    .group_segment_fixed_size: 0
    .kernarg_segment_align: 8
    .kernarg_segment_size: 352
    .language:       OpenCL C
    .language_version:
      - 2
      - 0
    .max_flat_workgroup_size: 64
    .name:           _ZN9rocsolver6v33100L11lasr_kernelI19rocblas_complex_numIfEfPS3_iEEv13rocblas_side_14rocblas_pivot_15rocblas_direct_T2_S8_PT0_lSA_lT1_lS8_lS8_
    .private_segment_fixed_size: 0
    .sgpr_count:     100
    .sgpr_spill_count: 11
    .symbol:         _ZN9rocsolver6v33100L11lasr_kernelI19rocblas_complex_numIfEfPS3_iEEv13rocblas_side_14rocblas_pivot_15rocblas_direct_T2_S8_PT0_lSA_lT1_lS8_lS8_.kd
    .uniform_work_group_size: 1
    .uses_dynamic_stack: false
    .vgpr_count:     47
    .vgpr_spill_count: 0
    .wavefront_size: 64
  - .args:
      - .offset:         0
        .size:           4
        .value_kind:     by_value
      - .address_space:  global
        .offset:         8
        .size:           8
        .value_kind:     global_buffer
      - .offset:         16
        .size:           4
        .value_kind:     by_value
      - .address_space:  global
        .offset:         24
        .size:           8
        .value_kind:     global_buffer
      - .offset:         32
        .size:           4
        .value_kind:     by_value
      - .offset:         40
        .size:           4
        .value_kind:     hidden_block_count_x
      - .offset:         44
        .size:           4
        .value_kind:     hidden_block_count_y
      - .offset:         48
        .size:           4
        .value_kind:     hidden_block_count_z
      - .offset:         52
        .size:           2
        .value_kind:     hidden_group_size_x
      - .offset:         54
        .size:           2
        .value_kind:     hidden_group_size_y
      - .offset:         56
        .size:           2
        .value_kind:     hidden_group_size_z
      - .offset:         58
        .size:           2
        .value_kind:     hidden_remainder_x
      - .offset:         60
        .size:           2
        .value_kind:     hidden_remainder_y
      - .offset:         62
        .size:           2
        .value_kind:     hidden_remainder_z
      - .offset:         80
        .size:           8
        .value_kind:     hidden_global_offset_x
      - .offset:         88
        .size:           8
        .value_kind:     hidden_global_offset_y
      - .offset:         96
        .size:           8
        .value_kind:     hidden_global_offset_z
      - .offset:         104
        .size:           2
        .value_kind:     hidden_grid_dims
    .group_segment_fixed_size: 0
    .kernarg_segment_align: 8
    .kernarg_segment_size: 296
    .language:       OpenCL C
    .language_version:
      - 2
      - 0
    .max_flat_workgroup_size: 1024
    .name:           _ZN9rocsolver6v33100L11swap_kernelI19rocblas_complex_numIfEiEEvT0_PT_S4_S6_S4_
    .private_segment_fixed_size: 0
    .sgpr_count:     21
    .sgpr_spill_count: 0
    .symbol:         _ZN9rocsolver6v33100L11swap_kernelI19rocblas_complex_numIfEiEEvT0_PT_S4_S6_S4_.kd
    .uniform_work_group_size: 1
    .uses_dynamic_stack: false
    .vgpr_count:     14
    .vgpr_spill_count: 0
    .wavefront_size: 64
  - .args:
      - .offset:         0
        .size:           4
        .value_kind:     by_value
      - .address_space:  global
        .offset:         8
        .size:           8
        .value_kind:     global_buffer
      - .offset:         16
        .size:           8
        .value_kind:     by_value
      - .address_space:  global
        .offset:         24
        .size:           8
        .value_kind:     global_buffer
      - .offset:         32
        .size:           8
        .value_kind:     by_value
      - .address_space:  global
        .offset:         40
        .size:           8
        .value_kind:     global_buffer
      - .offset:         48
        .size:           4
        .value_kind:     by_value
      - .offset:         52
        .size:           4
        .value_kind:     by_value
      - .offset:         56
        .size:           8
        .value_kind:     by_value
      - .address_space:  global
        .offset:         64
        .size:           8
        .value_kind:     global_buffer
      - .address_space:  global
        .offset:         72
        .size:           8
        .value_kind:     global_buffer
      - .offset:         80
        .size:           4
        .value_kind:     by_value
      - .offset:         84
        .size:           4
        .value_kind:     by_value
      - .offset:         88
        .size:           4
        .value_kind:     by_value
      - .offset:         92
        .size:           4
        .value_kind:     by_value
      - .offset:         96
        .size:           4
        .value_kind:     hidden_block_count_x
      - .offset:         100
        .size:           4
        .value_kind:     hidden_block_count_y
      - .offset:         104
        .size:           4
        .value_kind:     hidden_block_count_z
      - .offset:         108
        .size:           2
        .value_kind:     hidden_group_size_x
      - .offset:         110
        .size:           2
        .value_kind:     hidden_group_size_y
      - .offset:         112
        .size:           2
        .value_kind:     hidden_group_size_z
      - .offset:         114
        .size:           2
        .value_kind:     hidden_remainder_x
      - .offset:         116
        .size:           2
        .value_kind:     hidden_remainder_y
      - .offset:         118
        .size:           2
        .value_kind:     hidden_remainder_z
      - .offset:         136
        .size:           8
        .value_kind:     hidden_global_offset_x
      - .offset:         144
        .size:           8
        .value_kind:     hidden_global_offset_y
      - .offset:         152
        .size:           8
        .value_kind:     hidden_global_offset_z
      - .offset:         160
        .size:           2
        .value_kind:     hidden_grid_dims
    .group_segment_fixed_size: 36
    .kernarg_segment_align: 8
    .kernarg_segment_size: 352
    .language:       OpenCL C
    .language_version:
      - 2
      - 0
    .max_flat_workgroup_size: 1024
    .name:           _ZN9rocsolver6v33100L12steqr_kernelI19rocblas_complex_numIfEfPS3_EEviPT0_lS6_lT1_iilPiS6_iS5_S5_S5_
    .private_segment_fixed_size: 0
    .sgpr_count:     100
    .sgpr_spill_count: 4
    .symbol:         _ZN9rocsolver6v33100L12steqr_kernelI19rocblas_complex_numIfEfPS3_EEviPT0_lS6_lT1_iilPiS6_iS5_S5_S5_.kd
    .uniform_work_group_size: 1
    .uses_dynamic_stack: false
    .vgpr_count:     61
    .vgpr_spill_count: 0
    .wavefront_size: 64
  - .args:
      - .address_space:  global
        .offset:         0
        .size:           8
        .value_kind:     global_buffer
      - .offset:         8
        .size:           8
        .value_kind:     by_value
      - .offset:         16
        .size:           4
        .value_kind:     by_value
      - .offset:         20
        .size:           4
        .value_kind:     by_value
      - .offset:         24
        .size:           4
        .value_kind:     hidden_block_count_x
      - .offset:         28
        .size:           4
        .value_kind:     hidden_block_count_y
      - .offset:         32
        .size:           4
        .value_kind:     hidden_block_count_z
      - .offset:         36
        .size:           2
        .value_kind:     hidden_group_size_x
      - .offset:         38
        .size:           2
        .value_kind:     hidden_group_size_y
      - .offset:         40
        .size:           2
        .value_kind:     hidden_group_size_z
      - .offset:         42
        .size:           2
        .value_kind:     hidden_remainder_x
      - .offset:         44
        .size:           2
        .value_kind:     hidden_remainder_y
      - .offset:         46
        .size:           2
        .value_kind:     hidden_remainder_z
      - .offset:         64
        .size:           8
        .value_kind:     hidden_global_offset_x
      - .offset:         72
        .size:           8
        .value_kind:     hidden_global_offset_y
      - .offset:         80
        .size:           8
        .value_kind:     hidden_global_offset_z
      - .offset:         88
        .size:           2
        .value_kind:     hidden_grid_dims
    .group_segment_fixed_size: 0
    .kernarg_segment_align: 8
    .kernarg_segment_size: 280
    .language:       OpenCL C
    .language_version:
      - 2
      - 0
    .max_flat_workgroup_size: 1024
    .name:           _ZN9rocsolver6v33100L16reset_batch_infoI19rocblas_complex_numIdEiiPS3_EEvT2_lT0_T1_
    .private_segment_fixed_size: 0
    .sgpr_count:     16
    .sgpr_spill_count: 0
    .symbol:         _ZN9rocsolver6v33100L16reset_batch_infoI19rocblas_complex_numIdEiiPS3_EEvT2_lT0_T1_.kd
    .uniform_work_group_size: 1
    .uses_dynamic_stack: false
    .vgpr_count:     6
    .vgpr_spill_count: 0
    .wavefront_size: 64
  - .args:
      - .offset:         0
        .size:           4
        .value_kind:     by_value
      - .offset:         4
        .size:           4
        .value_kind:     by_value
      - .address_space:  global
        .offset:         8
        .size:           8
        .value_kind:     global_buffer
      - .offset:         16
        .size:           4
        .value_kind:     by_value
      - .offset:         20
        .size:           4
        .value_kind:     by_value
      - .offset:         24
        .size:           8
        .value_kind:     by_value
      - .offset:         32
        .size:           4
        .value_kind:     hidden_block_count_x
      - .offset:         36
        .size:           4
        .value_kind:     hidden_block_count_y
      - .offset:         40
        .size:           4
        .value_kind:     hidden_block_count_z
      - .offset:         44
        .size:           2
        .value_kind:     hidden_group_size_x
      - .offset:         46
        .size:           2
        .value_kind:     hidden_group_size_y
      - .offset:         48
        .size:           2
        .value_kind:     hidden_group_size_z
      - .offset:         50
        .size:           2
        .value_kind:     hidden_remainder_x
      - .offset:         52
        .size:           2
        .value_kind:     hidden_remainder_y
      - .offset:         54
        .size:           2
        .value_kind:     hidden_remainder_z
      - .offset:         72
        .size:           8
        .value_kind:     hidden_global_offset_x
      - .offset:         80
        .size:           8
        .value_kind:     hidden_global_offset_y
      - .offset:         88
        .size:           8
        .value_kind:     hidden_global_offset_z
      - .offset:         96
        .size:           2
        .value_kind:     hidden_grid_dims
    .group_segment_fixed_size: 0
    .kernarg_segment_align: 8
    .kernarg_segment_size: 288
    .language:       OpenCL C
    .language_version:
      - 2
      - 0
    .max_flat_workgroup_size: 1024
    .name:           _ZN9rocsolver6v33100L10init_identI19rocblas_complex_numIdEPS3_EEviiT0_iil
    .private_segment_fixed_size: 0
    .sgpr_count:     13
    .sgpr_spill_count: 0
    .symbol:         _ZN9rocsolver6v33100L10init_identI19rocblas_complex_numIdEPS3_EEviiT0_iil.kd
    .uniform_work_group_size: 1
    .uses_dynamic_stack: false
    .vgpr_count:     6
    .vgpr_spill_count: 0
    .wavefront_size: 64
  - .args:
      - .offset:         0
        .size:           4
        .value_kind:     by_value
      - .offset:         4
        .size:           4
        .value_kind:     by_value
      - .offset:         8
        .size:           4
        .value_kind:     by_value
      - .offset:         12
        .size:           4
        .value_kind:     by_value
      - .offset:         16
        .size:           4
        .value_kind:     by_value
      - .address_space:  global
        .offset:         24
        .size:           8
        .value_kind:     global_buffer
      - .offset:         32
        .size:           8
        .value_kind:     by_value
      - .address_space:  global
        .offset:         40
        .size:           8
        .value_kind:     global_buffer
      - .offset:         48
        .size:           8
        .value_kind:     by_value
      - .address_space:  global
        .offset:         56
        .size:           8
        .value_kind:     global_buffer
      - .offset:         64
        .size:           8
        .value_kind:     by_value
      - .offset:         72
        .size:           4
        .value_kind:     by_value
      - .offset:         80
        .size:           8
        .value_kind:     by_value
      - .offset:         88
        .size:           4
        .value_kind:     by_value
      - .offset:         96
        .size:           4
        .value_kind:     hidden_block_count_x
      - .offset:         100
        .size:           4
        .value_kind:     hidden_block_count_y
      - .offset:         104
        .size:           4
        .value_kind:     hidden_block_count_z
      - .offset:         108
        .size:           2
        .value_kind:     hidden_group_size_x
      - .offset:         110
        .size:           2
        .value_kind:     hidden_group_size_y
      - .offset:         112
        .size:           2
        .value_kind:     hidden_group_size_z
      - .offset:         114
        .size:           2
        .value_kind:     hidden_remainder_x
      - .offset:         116
        .size:           2
        .value_kind:     hidden_remainder_y
      - .offset:         118
        .size:           2
        .value_kind:     hidden_remainder_z
      - .offset:         136
        .size:           8
        .value_kind:     hidden_global_offset_x
      - .offset:         144
        .size:           8
        .value_kind:     hidden_global_offset_y
      - .offset:         152
        .size:           8
        .value_kind:     hidden_global_offset_z
      - .offset:         160
        .size:           2
        .value_kind:     hidden_grid_dims
    .group_segment_fixed_size: 0
    .kernarg_segment_align: 8
    .kernarg_segment_size: 352
    .language:       OpenCL C
    .language_version:
      - 2
      - 0
    .max_flat_workgroup_size: 64
    .name:           _ZN9rocsolver6v33100L11lasr_kernelI19rocblas_complex_numIdEdPS3_iEEv13rocblas_side_14rocblas_pivot_15rocblas_direct_T2_S8_PT0_lSA_lT1_lS8_lS8_
    .private_segment_fixed_size: 0
    .sgpr_count:     100
    .sgpr_spill_count: 11
    .symbol:         _ZN9rocsolver6v33100L11lasr_kernelI19rocblas_complex_numIdEdPS3_iEEv13rocblas_side_14rocblas_pivot_15rocblas_direct_T2_S8_PT0_lSA_lT1_lS8_lS8_.kd
    .uniform_work_group_size: 1
    .uses_dynamic_stack: false
    .vgpr_count:     57
    .vgpr_spill_count: 0
    .wavefront_size: 64
  - .args:
      - .offset:         0
        .size:           4
        .value_kind:     by_value
      - .address_space:  global
        .offset:         8
        .size:           8
        .value_kind:     global_buffer
      - .offset:         16
        .size:           4
        .value_kind:     by_value
      - .address_space:  global
        .offset:         24
        .size:           8
        .value_kind:     global_buffer
      - .offset:         32
        .size:           4
        .value_kind:     by_value
      - .offset:         40
        .size:           4
        .value_kind:     hidden_block_count_x
      - .offset:         44
        .size:           4
        .value_kind:     hidden_block_count_y
      - .offset:         48
        .size:           4
        .value_kind:     hidden_block_count_z
      - .offset:         52
        .size:           2
        .value_kind:     hidden_group_size_x
      - .offset:         54
        .size:           2
        .value_kind:     hidden_group_size_y
      - .offset:         56
        .size:           2
        .value_kind:     hidden_group_size_z
      - .offset:         58
        .size:           2
        .value_kind:     hidden_remainder_x
      - .offset:         60
        .size:           2
        .value_kind:     hidden_remainder_y
      - .offset:         62
        .size:           2
        .value_kind:     hidden_remainder_z
      - .offset:         80
        .size:           8
        .value_kind:     hidden_global_offset_x
      - .offset:         88
        .size:           8
        .value_kind:     hidden_global_offset_y
      - .offset:         96
        .size:           8
        .value_kind:     hidden_global_offset_z
      - .offset:         104
        .size:           2
        .value_kind:     hidden_grid_dims
    .group_segment_fixed_size: 32768
    .kernarg_segment_align: 8
    .kernarg_segment_size: 296
    .language:       OpenCL C
    .language_version:
      - 2
      - 0
    .max_flat_workgroup_size: 1024
    .name:           _ZN9rocsolver6v33100L11swap_kernelI19rocblas_complex_numIdEiEEvT0_PT_S4_S6_S4_
    .private_segment_fixed_size: 0
    .sgpr_count:     21
    .sgpr_spill_count: 0
    .symbol:         _ZN9rocsolver6v33100L11swap_kernelI19rocblas_complex_numIdEiEEvT0_PT_S4_S6_S4_.kd
    .uniform_work_group_size: 1
    .uses_dynamic_stack: false
    .vgpr_count:     19
    .vgpr_spill_count: 0
    .wavefront_size: 64
  - .args:
      - .offset:         0
        .size:           4
        .value_kind:     by_value
      - .address_space:  global
        .offset:         8
        .size:           8
        .value_kind:     global_buffer
      - .offset:         16
        .size:           8
        .value_kind:     by_value
      - .address_space:  global
        .offset:         24
        .size:           8
        .value_kind:     global_buffer
      - .offset:         32
        .size:           8
        .value_kind:     by_value
      - .address_space:  global
        .offset:         40
        .size:           8
        .value_kind:     global_buffer
      - .offset:         48
        .size:           4
        .value_kind:     by_value
      - .offset:         52
        .size:           4
        .value_kind:     by_value
      - .offset:         56
        .size:           8
        .value_kind:     by_value
      - .address_space:  global
        .offset:         64
        .size:           8
        .value_kind:     global_buffer
      - .address_space:  global
        .offset:         72
        .size:           8
        .value_kind:     global_buffer
      - .offset:         80
        .size:           4
        .value_kind:     by_value
      - .offset:         88
        .size:           8
        .value_kind:     by_value
      - .offset:         96
        .size:           8
        .value_kind:     by_value
      - .offset:         104
        .size:           8
        .value_kind:     by_value
      - .offset:         112
        .size:           4
        .value_kind:     hidden_block_count_x
      - .offset:         116
        .size:           4
        .value_kind:     hidden_block_count_y
      - .offset:         120
        .size:           4
        .value_kind:     hidden_block_count_z
      - .offset:         124
        .size:           2
        .value_kind:     hidden_group_size_x
      - .offset:         126
        .size:           2
        .value_kind:     hidden_group_size_y
      - .offset:         128
        .size:           2
        .value_kind:     hidden_group_size_z
      - .offset:         130
        .size:           2
        .value_kind:     hidden_remainder_x
      - .offset:         132
        .size:           2
        .value_kind:     hidden_remainder_y
      - .offset:         134
        .size:           2
        .value_kind:     hidden_remainder_z
      - .offset:         152
        .size:           8
        .value_kind:     hidden_global_offset_x
      - .offset:         160
        .size:           8
        .value_kind:     hidden_global_offset_y
      - .offset:         168
        .size:           8
        .value_kind:     hidden_global_offset_z
      - .offset:         176
        .size:           2
        .value_kind:     hidden_grid_dims
    .group_segment_fixed_size: 16432
    .kernarg_segment_align: 8
    .kernarg_segment_size: 368
    .language:       OpenCL C
    .language_version:
      - 2
      - 0
    .max_flat_workgroup_size: 1024
    .name:           _ZN9rocsolver6v33100L12steqr_kernelI19rocblas_complex_numIdEdPS3_EEviPT0_lS6_lT1_iilPiS6_iS5_S5_S5_
    .private_segment_fixed_size: 36
    .sgpr_count:     104
    .sgpr_spill_count: 10
    .symbol:         _ZN9rocsolver6v33100L12steqr_kernelI19rocblas_complex_numIdEdPS3_EEviPT0_lS6_lT1_iilPiS6_iS5_S5_S5_.kd
    .uniform_work_group_size: 1
    .uses_dynamic_stack: false
    .vgpr_count:     64
    .vgpr_spill_count: 8
    .wavefront_size: 64
amdhsa.target:   amdgcn-amd-amdhsa--gfx906
amdhsa.version:
  - 1
  - 2
...

	.end_amdgpu_metadata
